;; amdgpu-corpus repo=ROCm/rocThrust kind=compiled arch=gfx1030 opt=O3
	.amdgcn_target "amdgcn-amd-amdhsa--gfx1030"
	.amdhsa_code_object_version 6
	.section	.text._ZN6thrust23THRUST_200600_302600_NS11hip_rocprim14__parallel_for6kernelILj256ENS1_20__uninitialized_fill7functorINS0_10device_ptrIiEEiEEmLj1EEEvT0_T1_SA_,"axG",@progbits,_ZN6thrust23THRUST_200600_302600_NS11hip_rocprim14__parallel_for6kernelILj256ENS1_20__uninitialized_fill7functorINS0_10device_ptrIiEEiEEmLj1EEEvT0_T1_SA_,comdat
	.protected	_ZN6thrust23THRUST_200600_302600_NS11hip_rocprim14__parallel_for6kernelILj256ENS1_20__uninitialized_fill7functorINS0_10device_ptrIiEEiEEmLj1EEEvT0_T1_SA_ ; -- Begin function _ZN6thrust23THRUST_200600_302600_NS11hip_rocprim14__parallel_for6kernelILj256ENS1_20__uninitialized_fill7functorINS0_10device_ptrIiEEiEEmLj1EEEvT0_T1_SA_
	.globl	_ZN6thrust23THRUST_200600_302600_NS11hip_rocprim14__parallel_for6kernelILj256ENS1_20__uninitialized_fill7functorINS0_10device_ptrIiEEiEEmLj1EEEvT0_T1_SA_
	.p2align	8
	.type	_ZN6thrust23THRUST_200600_302600_NS11hip_rocprim14__parallel_for6kernelILj256ENS1_20__uninitialized_fill7functorINS0_10device_ptrIiEEiEEmLj1EEEvT0_T1_SA_,@function
_ZN6thrust23THRUST_200600_302600_NS11hip_rocprim14__parallel_for6kernelILj256ENS1_20__uninitialized_fill7functorINS0_10device_ptrIiEEiEEmLj1EEEvT0_T1_SA_: ; @_ZN6thrust23THRUST_200600_302600_NS11hip_rocprim14__parallel_for6kernelILj256ENS1_20__uninitialized_fill7functorINS0_10device_ptrIiEEiEEmLj1EEEvT0_T1_SA_
; %bb.0:
	s_clause 0x2
	s_load_dwordx4 s[8:11], s[4:5], 0x10
	s_load_dwordx2 s[0:1], s[4:5], 0x0
	s_load_dword s7, s[4:5], 0x8
	s_lshl_b32 s2, s6, 8
	s_waitcnt lgkmcnt(0)
	s_add_u32 s2, s10, s2
	s_addc_u32 s3, s11, 0
	s_sub_u32 s4, s8, s2
	s_subb_u32 s5, s9, s3
	v_cmp_lt_u64_e64 s5, 0xff, s[4:5]
	s_and_b32 vcc_lo, exec_lo, s5
	s_mov_b32 s5, -1
	s_cbranch_vccz .LBB0_3
; %bb.1:
	s_andn2_b32 vcc_lo, exec_lo, s5
	s_cbranch_vccz .LBB0_6
.LBB0_2:
	s_endpgm
.LBB0_3:
	v_cmp_gt_u32_e32 vcc_lo, s4, v0
	s_and_saveexec_b32 s4, vcc_lo
	s_cbranch_execz .LBB0_5
; %bb.4:
	v_lshlrev_b32_e32 v1, 2, v0
	s_lshl_b64 s[8:9], s[2:3], 2
	v_mov_b32_e32 v3, s7
	s_add_u32 s5, s0, s8
	s_addc_u32 s6, s1, s9
	v_add_co_u32 v1, s5, s5, v1
	v_add_co_ci_u32_e64 v2, null, s6, 0, s5
	flat_store_dword v[1:2], v3
.LBB0_5:
	s_or_b32 exec_lo, exec_lo, s4
	s_cbranch_execnz .LBB0_2
.LBB0_6:
	v_lshlrev_b32_e32 v0, 2, v0
	s_lshl_b64 s[2:3], s[2:3], 2
	v_mov_b32_e32 v2, s7
	s_add_u32 s0, s0, s2
	s_addc_u32 s1, s1, s3
	v_add_co_u32 v0, s0, s0, v0
	v_add_co_ci_u32_e64 v1, null, s1, 0, s0
	flat_store_dword v[0:1], v2
	s_endpgm
	.section	.rodata,"a",@progbits
	.p2align	6, 0x0
	.amdhsa_kernel _ZN6thrust23THRUST_200600_302600_NS11hip_rocprim14__parallel_for6kernelILj256ENS1_20__uninitialized_fill7functorINS0_10device_ptrIiEEiEEmLj1EEEvT0_T1_SA_
		.amdhsa_group_segment_fixed_size 0
		.amdhsa_private_segment_fixed_size 0
		.amdhsa_kernarg_size 32
		.amdhsa_user_sgpr_count 6
		.amdhsa_user_sgpr_private_segment_buffer 1
		.amdhsa_user_sgpr_dispatch_ptr 0
		.amdhsa_user_sgpr_queue_ptr 0
		.amdhsa_user_sgpr_kernarg_segment_ptr 1
		.amdhsa_user_sgpr_dispatch_id 0
		.amdhsa_user_sgpr_flat_scratch_init 0
		.amdhsa_user_sgpr_private_segment_size 0
		.amdhsa_wavefront_size32 1
		.amdhsa_uses_dynamic_stack 0
		.amdhsa_system_sgpr_private_segment_wavefront_offset 0
		.amdhsa_system_sgpr_workgroup_id_x 1
		.amdhsa_system_sgpr_workgroup_id_y 0
		.amdhsa_system_sgpr_workgroup_id_z 0
		.amdhsa_system_sgpr_workgroup_info 0
		.amdhsa_system_vgpr_workitem_id 0
		.amdhsa_next_free_vgpr 4
		.amdhsa_next_free_sgpr 12
		.amdhsa_reserve_vcc 1
		.amdhsa_reserve_flat_scratch 0
		.amdhsa_float_round_mode_32 0
		.amdhsa_float_round_mode_16_64 0
		.amdhsa_float_denorm_mode_32 3
		.amdhsa_float_denorm_mode_16_64 3
		.amdhsa_dx10_clamp 1
		.amdhsa_ieee_mode 1
		.amdhsa_fp16_overflow 0
		.amdhsa_workgroup_processor_mode 1
		.amdhsa_memory_ordered 1
		.amdhsa_forward_progress 1
		.amdhsa_shared_vgpr_count 0
		.amdhsa_exception_fp_ieee_invalid_op 0
		.amdhsa_exception_fp_denorm_src 0
		.amdhsa_exception_fp_ieee_div_zero 0
		.amdhsa_exception_fp_ieee_overflow 0
		.amdhsa_exception_fp_ieee_underflow 0
		.amdhsa_exception_fp_ieee_inexact 0
		.amdhsa_exception_int_div_zero 0
	.end_amdhsa_kernel
	.section	.text._ZN6thrust23THRUST_200600_302600_NS11hip_rocprim14__parallel_for6kernelILj256ENS1_20__uninitialized_fill7functorINS0_10device_ptrIiEEiEEmLj1EEEvT0_T1_SA_,"axG",@progbits,_ZN6thrust23THRUST_200600_302600_NS11hip_rocprim14__parallel_for6kernelILj256ENS1_20__uninitialized_fill7functorINS0_10device_ptrIiEEiEEmLj1EEEvT0_T1_SA_,comdat
.Lfunc_end0:
	.size	_ZN6thrust23THRUST_200600_302600_NS11hip_rocprim14__parallel_for6kernelILj256ENS1_20__uninitialized_fill7functorINS0_10device_ptrIiEEiEEmLj1EEEvT0_T1_SA_, .Lfunc_end0-_ZN6thrust23THRUST_200600_302600_NS11hip_rocprim14__parallel_for6kernelILj256ENS1_20__uninitialized_fill7functorINS0_10device_ptrIiEEiEEmLj1EEEvT0_T1_SA_
                                        ; -- End function
	.set _ZN6thrust23THRUST_200600_302600_NS11hip_rocprim14__parallel_for6kernelILj256ENS1_20__uninitialized_fill7functorINS0_10device_ptrIiEEiEEmLj1EEEvT0_T1_SA_.num_vgpr, 4
	.set _ZN6thrust23THRUST_200600_302600_NS11hip_rocprim14__parallel_for6kernelILj256ENS1_20__uninitialized_fill7functorINS0_10device_ptrIiEEiEEmLj1EEEvT0_T1_SA_.num_agpr, 0
	.set _ZN6thrust23THRUST_200600_302600_NS11hip_rocprim14__parallel_for6kernelILj256ENS1_20__uninitialized_fill7functorINS0_10device_ptrIiEEiEEmLj1EEEvT0_T1_SA_.numbered_sgpr, 12
	.set _ZN6thrust23THRUST_200600_302600_NS11hip_rocprim14__parallel_for6kernelILj256ENS1_20__uninitialized_fill7functorINS0_10device_ptrIiEEiEEmLj1EEEvT0_T1_SA_.num_named_barrier, 0
	.set _ZN6thrust23THRUST_200600_302600_NS11hip_rocprim14__parallel_for6kernelILj256ENS1_20__uninitialized_fill7functorINS0_10device_ptrIiEEiEEmLj1EEEvT0_T1_SA_.private_seg_size, 0
	.set _ZN6thrust23THRUST_200600_302600_NS11hip_rocprim14__parallel_for6kernelILj256ENS1_20__uninitialized_fill7functorINS0_10device_ptrIiEEiEEmLj1EEEvT0_T1_SA_.uses_vcc, 1
	.set _ZN6thrust23THRUST_200600_302600_NS11hip_rocprim14__parallel_for6kernelILj256ENS1_20__uninitialized_fill7functorINS0_10device_ptrIiEEiEEmLj1EEEvT0_T1_SA_.uses_flat_scratch, 0
	.set _ZN6thrust23THRUST_200600_302600_NS11hip_rocprim14__parallel_for6kernelILj256ENS1_20__uninitialized_fill7functorINS0_10device_ptrIiEEiEEmLj1EEEvT0_T1_SA_.has_dyn_sized_stack, 0
	.set _ZN6thrust23THRUST_200600_302600_NS11hip_rocprim14__parallel_for6kernelILj256ENS1_20__uninitialized_fill7functorINS0_10device_ptrIiEEiEEmLj1EEEvT0_T1_SA_.has_recursion, 0
	.set _ZN6thrust23THRUST_200600_302600_NS11hip_rocprim14__parallel_for6kernelILj256ENS1_20__uninitialized_fill7functorINS0_10device_ptrIiEEiEEmLj1EEEvT0_T1_SA_.has_indirect_call, 0
	.section	.AMDGPU.csdata,"",@progbits
; Kernel info:
; codeLenInByte = 200
; TotalNumSgprs: 14
; NumVgprs: 4
; ScratchSize: 0
; MemoryBound: 0
; FloatMode: 240
; IeeeMode: 1
; LDSByteSize: 0 bytes/workgroup (compile time only)
; SGPRBlocks: 0
; VGPRBlocks: 0
; NumSGPRsForWavesPerEU: 14
; NumVGPRsForWavesPerEU: 4
; Occupancy: 16
; WaveLimiterHint : 0
; COMPUTE_PGM_RSRC2:SCRATCH_EN: 0
; COMPUTE_PGM_RSRC2:USER_SGPR: 6
; COMPUTE_PGM_RSRC2:TRAP_HANDLER: 0
; COMPUTE_PGM_RSRC2:TGID_X_EN: 1
; COMPUTE_PGM_RSRC2:TGID_Y_EN: 0
; COMPUTE_PGM_RSRC2:TGID_Z_EN: 0
; COMPUTE_PGM_RSRC2:TIDIG_COMP_CNT: 0
	.section	.text._ZN7rocprim17ROCPRIM_400000_NS6detail17trampoline_kernelINS0_14default_configENS1_21merge_config_selectorIiNS0_10empty_typeEEEZNS1_10merge_implIS3_N6thrust23THRUST_200600_302600_NS6detail15normal_iteratorINS9_10device_ptrIKiEEEESF_NSB_INSC_IiEEEEPS5_SI_SI_NS9_4lessIiEEEE10hipError_tPvRmT0_T1_T2_T3_T4_T5_mmT6_P12ihipStream_tbEUlT_E_NS1_11comp_targetILNS1_3genE0ELNS1_11target_archE4294967295ELNS1_3gpuE0ELNS1_3repE0EEENS1_30default_config_static_selectorELNS0_4arch9wavefront6targetE0EEEvSP_,"axG",@progbits,_ZN7rocprim17ROCPRIM_400000_NS6detail17trampoline_kernelINS0_14default_configENS1_21merge_config_selectorIiNS0_10empty_typeEEEZNS1_10merge_implIS3_N6thrust23THRUST_200600_302600_NS6detail15normal_iteratorINS9_10device_ptrIKiEEEESF_NSB_INSC_IiEEEEPS5_SI_SI_NS9_4lessIiEEEE10hipError_tPvRmT0_T1_T2_T3_T4_T5_mmT6_P12ihipStream_tbEUlT_E_NS1_11comp_targetILNS1_3genE0ELNS1_11target_archE4294967295ELNS1_3gpuE0ELNS1_3repE0EEENS1_30default_config_static_selectorELNS0_4arch9wavefront6targetE0EEEvSP_,comdat
	.protected	_ZN7rocprim17ROCPRIM_400000_NS6detail17trampoline_kernelINS0_14default_configENS1_21merge_config_selectorIiNS0_10empty_typeEEEZNS1_10merge_implIS3_N6thrust23THRUST_200600_302600_NS6detail15normal_iteratorINS9_10device_ptrIKiEEEESF_NSB_INSC_IiEEEEPS5_SI_SI_NS9_4lessIiEEEE10hipError_tPvRmT0_T1_T2_T3_T4_T5_mmT6_P12ihipStream_tbEUlT_E_NS1_11comp_targetILNS1_3genE0ELNS1_11target_archE4294967295ELNS1_3gpuE0ELNS1_3repE0EEENS1_30default_config_static_selectorELNS0_4arch9wavefront6targetE0EEEvSP_ ; -- Begin function _ZN7rocprim17ROCPRIM_400000_NS6detail17trampoline_kernelINS0_14default_configENS1_21merge_config_selectorIiNS0_10empty_typeEEEZNS1_10merge_implIS3_N6thrust23THRUST_200600_302600_NS6detail15normal_iteratorINS9_10device_ptrIKiEEEESF_NSB_INSC_IiEEEEPS5_SI_SI_NS9_4lessIiEEEE10hipError_tPvRmT0_T1_T2_T3_T4_T5_mmT6_P12ihipStream_tbEUlT_E_NS1_11comp_targetILNS1_3genE0ELNS1_11target_archE4294967295ELNS1_3gpuE0ELNS1_3repE0EEENS1_30default_config_static_selectorELNS0_4arch9wavefront6targetE0EEEvSP_
	.globl	_ZN7rocprim17ROCPRIM_400000_NS6detail17trampoline_kernelINS0_14default_configENS1_21merge_config_selectorIiNS0_10empty_typeEEEZNS1_10merge_implIS3_N6thrust23THRUST_200600_302600_NS6detail15normal_iteratorINS9_10device_ptrIKiEEEESF_NSB_INSC_IiEEEEPS5_SI_SI_NS9_4lessIiEEEE10hipError_tPvRmT0_T1_T2_T3_T4_T5_mmT6_P12ihipStream_tbEUlT_E_NS1_11comp_targetILNS1_3genE0ELNS1_11target_archE4294967295ELNS1_3gpuE0ELNS1_3repE0EEENS1_30default_config_static_selectorELNS0_4arch9wavefront6targetE0EEEvSP_
	.p2align	8
	.type	_ZN7rocprim17ROCPRIM_400000_NS6detail17trampoline_kernelINS0_14default_configENS1_21merge_config_selectorIiNS0_10empty_typeEEEZNS1_10merge_implIS3_N6thrust23THRUST_200600_302600_NS6detail15normal_iteratorINS9_10device_ptrIKiEEEESF_NSB_INSC_IiEEEEPS5_SI_SI_NS9_4lessIiEEEE10hipError_tPvRmT0_T1_T2_T3_T4_T5_mmT6_P12ihipStream_tbEUlT_E_NS1_11comp_targetILNS1_3genE0ELNS1_11target_archE4294967295ELNS1_3gpuE0ELNS1_3repE0EEENS1_30default_config_static_selectorELNS0_4arch9wavefront6targetE0EEEvSP_,@function
_ZN7rocprim17ROCPRIM_400000_NS6detail17trampoline_kernelINS0_14default_configENS1_21merge_config_selectorIiNS0_10empty_typeEEEZNS1_10merge_implIS3_N6thrust23THRUST_200600_302600_NS6detail15normal_iteratorINS9_10device_ptrIKiEEEESF_NSB_INSC_IiEEEEPS5_SI_SI_NS9_4lessIiEEEE10hipError_tPvRmT0_T1_T2_T3_T4_T5_mmT6_P12ihipStream_tbEUlT_E_NS1_11comp_targetILNS1_3genE0ELNS1_11target_archE4294967295ELNS1_3gpuE0ELNS1_3repE0EEENS1_30default_config_static_selectorELNS0_4arch9wavefront6targetE0EEEvSP_: ; @_ZN7rocprim17ROCPRIM_400000_NS6detail17trampoline_kernelINS0_14default_configENS1_21merge_config_selectorIiNS0_10empty_typeEEEZNS1_10merge_implIS3_N6thrust23THRUST_200600_302600_NS6detail15normal_iteratorINS9_10device_ptrIKiEEEESF_NSB_INSC_IiEEEEPS5_SI_SI_NS9_4lessIiEEEE10hipError_tPvRmT0_T1_T2_T3_T4_T5_mmT6_P12ihipStream_tbEUlT_E_NS1_11comp_targetILNS1_3genE0ELNS1_11target_archE4294967295ELNS1_3gpuE0ELNS1_3repE0EEENS1_30default_config_static_selectorELNS0_4arch9wavefront6targetE0EEEvSP_
; %bb.0:
	.section	.rodata,"a",@progbits
	.p2align	6, 0x0
	.amdhsa_kernel _ZN7rocprim17ROCPRIM_400000_NS6detail17trampoline_kernelINS0_14default_configENS1_21merge_config_selectorIiNS0_10empty_typeEEEZNS1_10merge_implIS3_N6thrust23THRUST_200600_302600_NS6detail15normal_iteratorINS9_10device_ptrIKiEEEESF_NSB_INSC_IiEEEEPS5_SI_SI_NS9_4lessIiEEEE10hipError_tPvRmT0_T1_T2_T3_T4_T5_mmT6_P12ihipStream_tbEUlT_E_NS1_11comp_targetILNS1_3genE0ELNS1_11target_archE4294967295ELNS1_3gpuE0ELNS1_3repE0EEENS1_30default_config_static_selectorELNS0_4arch9wavefront6targetE0EEEvSP_
		.amdhsa_group_segment_fixed_size 0
		.amdhsa_private_segment_fixed_size 0
		.amdhsa_kernarg_size 48
		.amdhsa_user_sgpr_count 6
		.amdhsa_user_sgpr_private_segment_buffer 1
		.amdhsa_user_sgpr_dispatch_ptr 0
		.amdhsa_user_sgpr_queue_ptr 0
		.amdhsa_user_sgpr_kernarg_segment_ptr 1
		.amdhsa_user_sgpr_dispatch_id 0
		.amdhsa_user_sgpr_flat_scratch_init 0
		.amdhsa_user_sgpr_private_segment_size 0
		.amdhsa_wavefront_size32 1
		.amdhsa_uses_dynamic_stack 0
		.amdhsa_system_sgpr_private_segment_wavefront_offset 0
		.amdhsa_system_sgpr_workgroup_id_x 1
		.amdhsa_system_sgpr_workgroup_id_y 0
		.amdhsa_system_sgpr_workgroup_id_z 0
		.amdhsa_system_sgpr_workgroup_info 0
		.amdhsa_system_vgpr_workitem_id 0
		.amdhsa_next_free_vgpr 1
		.amdhsa_next_free_sgpr 1
		.amdhsa_reserve_vcc 0
		.amdhsa_reserve_flat_scratch 0
		.amdhsa_float_round_mode_32 0
		.amdhsa_float_round_mode_16_64 0
		.amdhsa_float_denorm_mode_32 3
		.amdhsa_float_denorm_mode_16_64 3
		.amdhsa_dx10_clamp 1
		.amdhsa_ieee_mode 1
		.amdhsa_fp16_overflow 0
		.amdhsa_workgroup_processor_mode 1
		.amdhsa_memory_ordered 1
		.amdhsa_forward_progress 1
		.amdhsa_shared_vgpr_count 0
		.amdhsa_exception_fp_ieee_invalid_op 0
		.amdhsa_exception_fp_denorm_src 0
		.amdhsa_exception_fp_ieee_div_zero 0
		.amdhsa_exception_fp_ieee_overflow 0
		.amdhsa_exception_fp_ieee_underflow 0
		.amdhsa_exception_fp_ieee_inexact 0
		.amdhsa_exception_int_div_zero 0
	.end_amdhsa_kernel
	.section	.text._ZN7rocprim17ROCPRIM_400000_NS6detail17trampoline_kernelINS0_14default_configENS1_21merge_config_selectorIiNS0_10empty_typeEEEZNS1_10merge_implIS3_N6thrust23THRUST_200600_302600_NS6detail15normal_iteratorINS9_10device_ptrIKiEEEESF_NSB_INSC_IiEEEEPS5_SI_SI_NS9_4lessIiEEEE10hipError_tPvRmT0_T1_T2_T3_T4_T5_mmT6_P12ihipStream_tbEUlT_E_NS1_11comp_targetILNS1_3genE0ELNS1_11target_archE4294967295ELNS1_3gpuE0ELNS1_3repE0EEENS1_30default_config_static_selectorELNS0_4arch9wavefront6targetE0EEEvSP_,"axG",@progbits,_ZN7rocprim17ROCPRIM_400000_NS6detail17trampoline_kernelINS0_14default_configENS1_21merge_config_selectorIiNS0_10empty_typeEEEZNS1_10merge_implIS3_N6thrust23THRUST_200600_302600_NS6detail15normal_iteratorINS9_10device_ptrIKiEEEESF_NSB_INSC_IiEEEEPS5_SI_SI_NS9_4lessIiEEEE10hipError_tPvRmT0_T1_T2_T3_T4_T5_mmT6_P12ihipStream_tbEUlT_E_NS1_11comp_targetILNS1_3genE0ELNS1_11target_archE4294967295ELNS1_3gpuE0ELNS1_3repE0EEENS1_30default_config_static_selectorELNS0_4arch9wavefront6targetE0EEEvSP_,comdat
.Lfunc_end1:
	.size	_ZN7rocprim17ROCPRIM_400000_NS6detail17trampoline_kernelINS0_14default_configENS1_21merge_config_selectorIiNS0_10empty_typeEEEZNS1_10merge_implIS3_N6thrust23THRUST_200600_302600_NS6detail15normal_iteratorINS9_10device_ptrIKiEEEESF_NSB_INSC_IiEEEEPS5_SI_SI_NS9_4lessIiEEEE10hipError_tPvRmT0_T1_T2_T3_T4_T5_mmT6_P12ihipStream_tbEUlT_E_NS1_11comp_targetILNS1_3genE0ELNS1_11target_archE4294967295ELNS1_3gpuE0ELNS1_3repE0EEENS1_30default_config_static_selectorELNS0_4arch9wavefront6targetE0EEEvSP_, .Lfunc_end1-_ZN7rocprim17ROCPRIM_400000_NS6detail17trampoline_kernelINS0_14default_configENS1_21merge_config_selectorIiNS0_10empty_typeEEEZNS1_10merge_implIS3_N6thrust23THRUST_200600_302600_NS6detail15normal_iteratorINS9_10device_ptrIKiEEEESF_NSB_INSC_IiEEEEPS5_SI_SI_NS9_4lessIiEEEE10hipError_tPvRmT0_T1_T2_T3_T4_T5_mmT6_P12ihipStream_tbEUlT_E_NS1_11comp_targetILNS1_3genE0ELNS1_11target_archE4294967295ELNS1_3gpuE0ELNS1_3repE0EEENS1_30default_config_static_selectorELNS0_4arch9wavefront6targetE0EEEvSP_
                                        ; -- End function
	.set _ZN7rocprim17ROCPRIM_400000_NS6detail17trampoline_kernelINS0_14default_configENS1_21merge_config_selectorIiNS0_10empty_typeEEEZNS1_10merge_implIS3_N6thrust23THRUST_200600_302600_NS6detail15normal_iteratorINS9_10device_ptrIKiEEEESF_NSB_INSC_IiEEEEPS5_SI_SI_NS9_4lessIiEEEE10hipError_tPvRmT0_T1_T2_T3_T4_T5_mmT6_P12ihipStream_tbEUlT_E_NS1_11comp_targetILNS1_3genE0ELNS1_11target_archE4294967295ELNS1_3gpuE0ELNS1_3repE0EEENS1_30default_config_static_selectorELNS0_4arch9wavefront6targetE0EEEvSP_.num_vgpr, 0
	.set _ZN7rocprim17ROCPRIM_400000_NS6detail17trampoline_kernelINS0_14default_configENS1_21merge_config_selectorIiNS0_10empty_typeEEEZNS1_10merge_implIS3_N6thrust23THRUST_200600_302600_NS6detail15normal_iteratorINS9_10device_ptrIKiEEEESF_NSB_INSC_IiEEEEPS5_SI_SI_NS9_4lessIiEEEE10hipError_tPvRmT0_T1_T2_T3_T4_T5_mmT6_P12ihipStream_tbEUlT_E_NS1_11comp_targetILNS1_3genE0ELNS1_11target_archE4294967295ELNS1_3gpuE0ELNS1_3repE0EEENS1_30default_config_static_selectorELNS0_4arch9wavefront6targetE0EEEvSP_.num_agpr, 0
	.set _ZN7rocprim17ROCPRIM_400000_NS6detail17trampoline_kernelINS0_14default_configENS1_21merge_config_selectorIiNS0_10empty_typeEEEZNS1_10merge_implIS3_N6thrust23THRUST_200600_302600_NS6detail15normal_iteratorINS9_10device_ptrIKiEEEESF_NSB_INSC_IiEEEEPS5_SI_SI_NS9_4lessIiEEEE10hipError_tPvRmT0_T1_T2_T3_T4_T5_mmT6_P12ihipStream_tbEUlT_E_NS1_11comp_targetILNS1_3genE0ELNS1_11target_archE4294967295ELNS1_3gpuE0ELNS1_3repE0EEENS1_30default_config_static_selectorELNS0_4arch9wavefront6targetE0EEEvSP_.numbered_sgpr, 0
	.set _ZN7rocprim17ROCPRIM_400000_NS6detail17trampoline_kernelINS0_14default_configENS1_21merge_config_selectorIiNS0_10empty_typeEEEZNS1_10merge_implIS3_N6thrust23THRUST_200600_302600_NS6detail15normal_iteratorINS9_10device_ptrIKiEEEESF_NSB_INSC_IiEEEEPS5_SI_SI_NS9_4lessIiEEEE10hipError_tPvRmT0_T1_T2_T3_T4_T5_mmT6_P12ihipStream_tbEUlT_E_NS1_11comp_targetILNS1_3genE0ELNS1_11target_archE4294967295ELNS1_3gpuE0ELNS1_3repE0EEENS1_30default_config_static_selectorELNS0_4arch9wavefront6targetE0EEEvSP_.num_named_barrier, 0
	.set _ZN7rocprim17ROCPRIM_400000_NS6detail17trampoline_kernelINS0_14default_configENS1_21merge_config_selectorIiNS0_10empty_typeEEEZNS1_10merge_implIS3_N6thrust23THRUST_200600_302600_NS6detail15normal_iteratorINS9_10device_ptrIKiEEEESF_NSB_INSC_IiEEEEPS5_SI_SI_NS9_4lessIiEEEE10hipError_tPvRmT0_T1_T2_T3_T4_T5_mmT6_P12ihipStream_tbEUlT_E_NS1_11comp_targetILNS1_3genE0ELNS1_11target_archE4294967295ELNS1_3gpuE0ELNS1_3repE0EEENS1_30default_config_static_selectorELNS0_4arch9wavefront6targetE0EEEvSP_.private_seg_size, 0
	.set _ZN7rocprim17ROCPRIM_400000_NS6detail17trampoline_kernelINS0_14default_configENS1_21merge_config_selectorIiNS0_10empty_typeEEEZNS1_10merge_implIS3_N6thrust23THRUST_200600_302600_NS6detail15normal_iteratorINS9_10device_ptrIKiEEEESF_NSB_INSC_IiEEEEPS5_SI_SI_NS9_4lessIiEEEE10hipError_tPvRmT0_T1_T2_T3_T4_T5_mmT6_P12ihipStream_tbEUlT_E_NS1_11comp_targetILNS1_3genE0ELNS1_11target_archE4294967295ELNS1_3gpuE0ELNS1_3repE0EEENS1_30default_config_static_selectorELNS0_4arch9wavefront6targetE0EEEvSP_.uses_vcc, 0
	.set _ZN7rocprim17ROCPRIM_400000_NS6detail17trampoline_kernelINS0_14default_configENS1_21merge_config_selectorIiNS0_10empty_typeEEEZNS1_10merge_implIS3_N6thrust23THRUST_200600_302600_NS6detail15normal_iteratorINS9_10device_ptrIKiEEEESF_NSB_INSC_IiEEEEPS5_SI_SI_NS9_4lessIiEEEE10hipError_tPvRmT0_T1_T2_T3_T4_T5_mmT6_P12ihipStream_tbEUlT_E_NS1_11comp_targetILNS1_3genE0ELNS1_11target_archE4294967295ELNS1_3gpuE0ELNS1_3repE0EEENS1_30default_config_static_selectorELNS0_4arch9wavefront6targetE0EEEvSP_.uses_flat_scratch, 0
	.set _ZN7rocprim17ROCPRIM_400000_NS6detail17trampoline_kernelINS0_14default_configENS1_21merge_config_selectorIiNS0_10empty_typeEEEZNS1_10merge_implIS3_N6thrust23THRUST_200600_302600_NS6detail15normal_iteratorINS9_10device_ptrIKiEEEESF_NSB_INSC_IiEEEEPS5_SI_SI_NS9_4lessIiEEEE10hipError_tPvRmT0_T1_T2_T3_T4_T5_mmT6_P12ihipStream_tbEUlT_E_NS1_11comp_targetILNS1_3genE0ELNS1_11target_archE4294967295ELNS1_3gpuE0ELNS1_3repE0EEENS1_30default_config_static_selectorELNS0_4arch9wavefront6targetE0EEEvSP_.has_dyn_sized_stack, 0
	.set _ZN7rocprim17ROCPRIM_400000_NS6detail17trampoline_kernelINS0_14default_configENS1_21merge_config_selectorIiNS0_10empty_typeEEEZNS1_10merge_implIS3_N6thrust23THRUST_200600_302600_NS6detail15normal_iteratorINS9_10device_ptrIKiEEEESF_NSB_INSC_IiEEEEPS5_SI_SI_NS9_4lessIiEEEE10hipError_tPvRmT0_T1_T2_T3_T4_T5_mmT6_P12ihipStream_tbEUlT_E_NS1_11comp_targetILNS1_3genE0ELNS1_11target_archE4294967295ELNS1_3gpuE0ELNS1_3repE0EEENS1_30default_config_static_selectorELNS0_4arch9wavefront6targetE0EEEvSP_.has_recursion, 0
	.set _ZN7rocprim17ROCPRIM_400000_NS6detail17trampoline_kernelINS0_14default_configENS1_21merge_config_selectorIiNS0_10empty_typeEEEZNS1_10merge_implIS3_N6thrust23THRUST_200600_302600_NS6detail15normal_iteratorINS9_10device_ptrIKiEEEESF_NSB_INSC_IiEEEEPS5_SI_SI_NS9_4lessIiEEEE10hipError_tPvRmT0_T1_T2_T3_T4_T5_mmT6_P12ihipStream_tbEUlT_E_NS1_11comp_targetILNS1_3genE0ELNS1_11target_archE4294967295ELNS1_3gpuE0ELNS1_3repE0EEENS1_30default_config_static_selectorELNS0_4arch9wavefront6targetE0EEEvSP_.has_indirect_call, 0
	.section	.AMDGPU.csdata,"",@progbits
; Kernel info:
; codeLenInByte = 0
; TotalNumSgprs: 0
; NumVgprs: 0
; ScratchSize: 0
; MemoryBound: 0
; FloatMode: 240
; IeeeMode: 1
; LDSByteSize: 0 bytes/workgroup (compile time only)
; SGPRBlocks: 0
; VGPRBlocks: 0
; NumSGPRsForWavesPerEU: 1
; NumVGPRsForWavesPerEU: 1
; Occupancy: 16
; WaveLimiterHint : 0
; COMPUTE_PGM_RSRC2:SCRATCH_EN: 0
; COMPUTE_PGM_RSRC2:USER_SGPR: 6
; COMPUTE_PGM_RSRC2:TRAP_HANDLER: 0
; COMPUTE_PGM_RSRC2:TGID_X_EN: 1
; COMPUTE_PGM_RSRC2:TGID_Y_EN: 0
; COMPUTE_PGM_RSRC2:TGID_Z_EN: 0
; COMPUTE_PGM_RSRC2:TIDIG_COMP_CNT: 0
	.section	.text._ZN7rocprim17ROCPRIM_400000_NS6detail17trampoline_kernelINS0_14default_configENS1_21merge_config_selectorIiNS0_10empty_typeEEEZNS1_10merge_implIS3_N6thrust23THRUST_200600_302600_NS6detail15normal_iteratorINS9_10device_ptrIKiEEEESF_NSB_INSC_IiEEEEPS5_SI_SI_NS9_4lessIiEEEE10hipError_tPvRmT0_T1_T2_T3_T4_T5_mmT6_P12ihipStream_tbEUlT_E_NS1_11comp_targetILNS1_3genE5ELNS1_11target_archE942ELNS1_3gpuE9ELNS1_3repE0EEENS1_30default_config_static_selectorELNS0_4arch9wavefront6targetE0EEEvSP_,"axG",@progbits,_ZN7rocprim17ROCPRIM_400000_NS6detail17trampoline_kernelINS0_14default_configENS1_21merge_config_selectorIiNS0_10empty_typeEEEZNS1_10merge_implIS3_N6thrust23THRUST_200600_302600_NS6detail15normal_iteratorINS9_10device_ptrIKiEEEESF_NSB_INSC_IiEEEEPS5_SI_SI_NS9_4lessIiEEEE10hipError_tPvRmT0_T1_T2_T3_T4_T5_mmT6_P12ihipStream_tbEUlT_E_NS1_11comp_targetILNS1_3genE5ELNS1_11target_archE942ELNS1_3gpuE9ELNS1_3repE0EEENS1_30default_config_static_selectorELNS0_4arch9wavefront6targetE0EEEvSP_,comdat
	.protected	_ZN7rocprim17ROCPRIM_400000_NS6detail17trampoline_kernelINS0_14default_configENS1_21merge_config_selectorIiNS0_10empty_typeEEEZNS1_10merge_implIS3_N6thrust23THRUST_200600_302600_NS6detail15normal_iteratorINS9_10device_ptrIKiEEEESF_NSB_INSC_IiEEEEPS5_SI_SI_NS9_4lessIiEEEE10hipError_tPvRmT0_T1_T2_T3_T4_T5_mmT6_P12ihipStream_tbEUlT_E_NS1_11comp_targetILNS1_3genE5ELNS1_11target_archE942ELNS1_3gpuE9ELNS1_3repE0EEENS1_30default_config_static_selectorELNS0_4arch9wavefront6targetE0EEEvSP_ ; -- Begin function _ZN7rocprim17ROCPRIM_400000_NS6detail17trampoline_kernelINS0_14default_configENS1_21merge_config_selectorIiNS0_10empty_typeEEEZNS1_10merge_implIS3_N6thrust23THRUST_200600_302600_NS6detail15normal_iteratorINS9_10device_ptrIKiEEEESF_NSB_INSC_IiEEEEPS5_SI_SI_NS9_4lessIiEEEE10hipError_tPvRmT0_T1_T2_T3_T4_T5_mmT6_P12ihipStream_tbEUlT_E_NS1_11comp_targetILNS1_3genE5ELNS1_11target_archE942ELNS1_3gpuE9ELNS1_3repE0EEENS1_30default_config_static_selectorELNS0_4arch9wavefront6targetE0EEEvSP_
	.globl	_ZN7rocprim17ROCPRIM_400000_NS6detail17trampoline_kernelINS0_14default_configENS1_21merge_config_selectorIiNS0_10empty_typeEEEZNS1_10merge_implIS3_N6thrust23THRUST_200600_302600_NS6detail15normal_iteratorINS9_10device_ptrIKiEEEESF_NSB_INSC_IiEEEEPS5_SI_SI_NS9_4lessIiEEEE10hipError_tPvRmT0_T1_T2_T3_T4_T5_mmT6_P12ihipStream_tbEUlT_E_NS1_11comp_targetILNS1_3genE5ELNS1_11target_archE942ELNS1_3gpuE9ELNS1_3repE0EEENS1_30default_config_static_selectorELNS0_4arch9wavefront6targetE0EEEvSP_
	.p2align	8
	.type	_ZN7rocprim17ROCPRIM_400000_NS6detail17trampoline_kernelINS0_14default_configENS1_21merge_config_selectorIiNS0_10empty_typeEEEZNS1_10merge_implIS3_N6thrust23THRUST_200600_302600_NS6detail15normal_iteratorINS9_10device_ptrIKiEEEESF_NSB_INSC_IiEEEEPS5_SI_SI_NS9_4lessIiEEEE10hipError_tPvRmT0_T1_T2_T3_T4_T5_mmT6_P12ihipStream_tbEUlT_E_NS1_11comp_targetILNS1_3genE5ELNS1_11target_archE942ELNS1_3gpuE9ELNS1_3repE0EEENS1_30default_config_static_selectorELNS0_4arch9wavefront6targetE0EEEvSP_,@function
_ZN7rocprim17ROCPRIM_400000_NS6detail17trampoline_kernelINS0_14default_configENS1_21merge_config_selectorIiNS0_10empty_typeEEEZNS1_10merge_implIS3_N6thrust23THRUST_200600_302600_NS6detail15normal_iteratorINS9_10device_ptrIKiEEEESF_NSB_INSC_IiEEEEPS5_SI_SI_NS9_4lessIiEEEE10hipError_tPvRmT0_T1_T2_T3_T4_T5_mmT6_P12ihipStream_tbEUlT_E_NS1_11comp_targetILNS1_3genE5ELNS1_11target_archE942ELNS1_3gpuE9ELNS1_3repE0EEENS1_30default_config_static_selectorELNS0_4arch9wavefront6targetE0EEEvSP_: ; @_ZN7rocprim17ROCPRIM_400000_NS6detail17trampoline_kernelINS0_14default_configENS1_21merge_config_selectorIiNS0_10empty_typeEEEZNS1_10merge_implIS3_N6thrust23THRUST_200600_302600_NS6detail15normal_iteratorINS9_10device_ptrIKiEEEESF_NSB_INSC_IiEEEEPS5_SI_SI_NS9_4lessIiEEEE10hipError_tPvRmT0_T1_T2_T3_T4_T5_mmT6_P12ihipStream_tbEUlT_E_NS1_11comp_targetILNS1_3genE5ELNS1_11target_archE942ELNS1_3gpuE9ELNS1_3repE0EEENS1_30default_config_static_selectorELNS0_4arch9wavefront6targetE0EEEvSP_
; %bb.0:
	.section	.rodata,"a",@progbits
	.p2align	6, 0x0
	.amdhsa_kernel _ZN7rocprim17ROCPRIM_400000_NS6detail17trampoline_kernelINS0_14default_configENS1_21merge_config_selectorIiNS0_10empty_typeEEEZNS1_10merge_implIS3_N6thrust23THRUST_200600_302600_NS6detail15normal_iteratorINS9_10device_ptrIKiEEEESF_NSB_INSC_IiEEEEPS5_SI_SI_NS9_4lessIiEEEE10hipError_tPvRmT0_T1_T2_T3_T4_T5_mmT6_P12ihipStream_tbEUlT_E_NS1_11comp_targetILNS1_3genE5ELNS1_11target_archE942ELNS1_3gpuE9ELNS1_3repE0EEENS1_30default_config_static_selectorELNS0_4arch9wavefront6targetE0EEEvSP_
		.amdhsa_group_segment_fixed_size 0
		.amdhsa_private_segment_fixed_size 0
		.amdhsa_kernarg_size 48
		.amdhsa_user_sgpr_count 6
		.amdhsa_user_sgpr_private_segment_buffer 1
		.amdhsa_user_sgpr_dispatch_ptr 0
		.amdhsa_user_sgpr_queue_ptr 0
		.amdhsa_user_sgpr_kernarg_segment_ptr 1
		.amdhsa_user_sgpr_dispatch_id 0
		.amdhsa_user_sgpr_flat_scratch_init 0
		.amdhsa_user_sgpr_private_segment_size 0
		.amdhsa_wavefront_size32 1
		.amdhsa_uses_dynamic_stack 0
		.amdhsa_system_sgpr_private_segment_wavefront_offset 0
		.amdhsa_system_sgpr_workgroup_id_x 1
		.amdhsa_system_sgpr_workgroup_id_y 0
		.amdhsa_system_sgpr_workgroup_id_z 0
		.amdhsa_system_sgpr_workgroup_info 0
		.amdhsa_system_vgpr_workitem_id 0
		.amdhsa_next_free_vgpr 1
		.amdhsa_next_free_sgpr 1
		.amdhsa_reserve_vcc 0
		.amdhsa_reserve_flat_scratch 0
		.amdhsa_float_round_mode_32 0
		.amdhsa_float_round_mode_16_64 0
		.amdhsa_float_denorm_mode_32 3
		.amdhsa_float_denorm_mode_16_64 3
		.amdhsa_dx10_clamp 1
		.amdhsa_ieee_mode 1
		.amdhsa_fp16_overflow 0
		.amdhsa_workgroup_processor_mode 1
		.amdhsa_memory_ordered 1
		.amdhsa_forward_progress 1
		.amdhsa_shared_vgpr_count 0
		.amdhsa_exception_fp_ieee_invalid_op 0
		.amdhsa_exception_fp_denorm_src 0
		.amdhsa_exception_fp_ieee_div_zero 0
		.amdhsa_exception_fp_ieee_overflow 0
		.amdhsa_exception_fp_ieee_underflow 0
		.amdhsa_exception_fp_ieee_inexact 0
		.amdhsa_exception_int_div_zero 0
	.end_amdhsa_kernel
	.section	.text._ZN7rocprim17ROCPRIM_400000_NS6detail17trampoline_kernelINS0_14default_configENS1_21merge_config_selectorIiNS0_10empty_typeEEEZNS1_10merge_implIS3_N6thrust23THRUST_200600_302600_NS6detail15normal_iteratorINS9_10device_ptrIKiEEEESF_NSB_INSC_IiEEEEPS5_SI_SI_NS9_4lessIiEEEE10hipError_tPvRmT0_T1_T2_T3_T4_T5_mmT6_P12ihipStream_tbEUlT_E_NS1_11comp_targetILNS1_3genE5ELNS1_11target_archE942ELNS1_3gpuE9ELNS1_3repE0EEENS1_30default_config_static_selectorELNS0_4arch9wavefront6targetE0EEEvSP_,"axG",@progbits,_ZN7rocprim17ROCPRIM_400000_NS6detail17trampoline_kernelINS0_14default_configENS1_21merge_config_selectorIiNS0_10empty_typeEEEZNS1_10merge_implIS3_N6thrust23THRUST_200600_302600_NS6detail15normal_iteratorINS9_10device_ptrIKiEEEESF_NSB_INSC_IiEEEEPS5_SI_SI_NS9_4lessIiEEEE10hipError_tPvRmT0_T1_T2_T3_T4_T5_mmT6_P12ihipStream_tbEUlT_E_NS1_11comp_targetILNS1_3genE5ELNS1_11target_archE942ELNS1_3gpuE9ELNS1_3repE0EEENS1_30default_config_static_selectorELNS0_4arch9wavefront6targetE0EEEvSP_,comdat
.Lfunc_end2:
	.size	_ZN7rocprim17ROCPRIM_400000_NS6detail17trampoline_kernelINS0_14default_configENS1_21merge_config_selectorIiNS0_10empty_typeEEEZNS1_10merge_implIS3_N6thrust23THRUST_200600_302600_NS6detail15normal_iteratorINS9_10device_ptrIKiEEEESF_NSB_INSC_IiEEEEPS5_SI_SI_NS9_4lessIiEEEE10hipError_tPvRmT0_T1_T2_T3_T4_T5_mmT6_P12ihipStream_tbEUlT_E_NS1_11comp_targetILNS1_3genE5ELNS1_11target_archE942ELNS1_3gpuE9ELNS1_3repE0EEENS1_30default_config_static_selectorELNS0_4arch9wavefront6targetE0EEEvSP_, .Lfunc_end2-_ZN7rocprim17ROCPRIM_400000_NS6detail17trampoline_kernelINS0_14default_configENS1_21merge_config_selectorIiNS0_10empty_typeEEEZNS1_10merge_implIS3_N6thrust23THRUST_200600_302600_NS6detail15normal_iteratorINS9_10device_ptrIKiEEEESF_NSB_INSC_IiEEEEPS5_SI_SI_NS9_4lessIiEEEE10hipError_tPvRmT0_T1_T2_T3_T4_T5_mmT6_P12ihipStream_tbEUlT_E_NS1_11comp_targetILNS1_3genE5ELNS1_11target_archE942ELNS1_3gpuE9ELNS1_3repE0EEENS1_30default_config_static_selectorELNS0_4arch9wavefront6targetE0EEEvSP_
                                        ; -- End function
	.set _ZN7rocprim17ROCPRIM_400000_NS6detail17trampoline_kernelINS0_14default_configENS1_21merge_config_selectorIiNS0_10empty_typeEEEZNS1_10merge_implIS3_N6thrust23THRUST_200600_302600_NS6detail15normal_iteratorINS9_10device_ptrIKiEEEESF_NSB_INSC_IiEEEEPS5_SI_SI_NS9_4lessIiEEEE10hipError_tPvRmT0_T1_T2_T3_T4_T5_mmT6_P12ihipStream_tbEUlT_E_NS1_11comp_targetILNS1_3genE5ELNS1_11target_archE942ELNS1_3gpuE9ELNS1_3repE0EEENS1_30default_config_static_selectorELNS0_4arch9wavefront6targetE0EEEvSP_.num_vgpr, 0
	.set _ZN7rocprim17ROCPRIM_400000_NS6detail17trampoline_kernelINS0_14default_configENS1_21merge_config_selectorIiNS0_10empty_typeEEEZNS1_10merge_implIS3_N6thrust23THRUST_200600_302600_NS6detail15normal_iteratorINS9_10device_ptrIKiEEEESF_NSB_INSC_IiEEEEPS5_SI_SI_NS9_4lessIiEEEE10hipError_tPvRmT0_T1_T2_T3_T4_T5_mmT6_P12ihipStream_tbEUlT_E_NS1_11comp_targetILNS1_3genE5ELNS1_11target_archE942ELNS1_3gpuE9ELNS1_3repE0EEENS1_30default_config_static_selectorELNS0_4arch9wavefront6targetE0EEEvSP_.num_agpr, 0
	.set _ZN7rocprim17ROCPRIM_400000_NS6detail17trampoline_kernelINS0_14default_configENS1_21merge_config_selectorIiNS0_10empty_typeEEEZNS1_10merge_implIS3_N6thrust23THRUST_200600_302600_NS6detail15normal_iteratorINS9_10device_ptrIKiEEEESF_NSB_INSC_IiEEEEPS5_SI_SI_NS9_4lessIiEEEE10hipError_tPvRmT0_T1_T2_T3_T4_T5_mmT6_P12ihipStream_tbEUlT_E_NS1_11comp_targetILNS1_3genE5ELNS1_11target_archE942ELNS1_3gpuE9ELNS1_3repE0EEENS1_30default_config_static_selectorELNS0_4arch9wavefront6targetE0EEEvSP_.numbered_sgpr, 0
	.set _ZN7rocprim17ROCPRIM_400000_NS6detail17trampoline_kernelINS0_14default_configENS1_21merge_config_selectorIiNS0_10empty_typeEEEZNS1_10merge_implIS3_N6thrust23THRUST_200600_302600_NS6detail15normal_iteratorINS9_10device_ptrIKiEEEESF_NSB_INSC_IiEEEEPS5_SI_SI_NS9_4lessIiEEEE10hipError_tPvRmT0_T1_T2_T3_T4_T5_mmT6_P12ihipStream_tbEUlT_E_NS1_11comp_targetILNS1_3genE5ELNS1_11target_archE942ELNS1_3gpuE9ELNS1_3repE0EEENS1_30default_config_static_selectorELNS0_4arch9wavefront6targetE0EEEvSP_.num_named_barrier, 0
	.set _ZN7rocprim17ROCPRIM_400000_NS6detail17trampoline_kernelINS0_14default_configENS1_21merge_config_selectorIiNS0_10empty_typeEEEZNS1_10merge_implIS3_N6thrust23THRUST_200600_302600_NS6detail15normal_iteratorINS9_10device_ptrIKiEEEESF_NSB_INSC_IiEEEEPS5_SI_SI_NS9_4lessIiEEEE10hipError_tPvRmT0_T1_T2_T3_T4_T5_mmT6_P12ihipStream_tbEUlT_E_NS1_11comp_targetILNS1_3genE5ELNS1_11target_archE942ELNS1_3gpuE9ELNS1_3repE0EEENS1_30default_config_static_selectorELNS0_4arch9wavefront6targetE0EEEvSP_.private_seg_size, 0
	.set _ZN7rocprim17ROCPRIM_400000_NS6detail17trampoline_kernelINS0_14default_configENS1_21merge_config_selectorIiNS0_10empty_typeEEEZNS1_10merge_implIS3_N6thrust23THRUST_200600_302600_NS6detail15normal_iteratorINS9_10device_ptrIKiEEEESF_NSB_INSC_IiEEEEPS5_SI_SI_NS9_4lessIiEEEE10hipError_tPvRmT0_T1_T2_T3_T4_T5_mmT6_P12ihipStream_tbEUlT_E_NS1_11comp_targetILNS1_3genE5ELNS1_11target_archE942ELNS1_3gpuE9ELNS1_3repE0EEENS1_30default_config_static_selectorELNS0_4arch9wavefront6targetE0EEEvSP_.uses_vcc, 0
	.set _ZN7rocprim17ROCPRIM_400000_NS6detail17trampoline_kernelINS0_14default_configENS1_21merge_config_selectorIiNS0_10empty_typeEEEZNS1_10merge_implIS3_N6thrust23THRUST_200600_302600_NS6detail15normal_iteratorINS9_10device_ptrIKiEEEESF_NSB_INSC_IiEEEEPS5_SI_SI_NS9_4lessIiEEEE10hipError_tPvRmT0_T1_T2_T3_T4_T5_mmT6_P12ihipStream_tbEUlT_E_NS1_11comp_targetILNS1_3genE5ELNS1_11target_archE942ELNS1_3gpuE9ELNS1_3repE0EEENS1_30default_config_static_selectorELNS0_4arch9wavefront6targetE0EEEvSP_.uses_flat_scratch, 0
	.set _ZN7rocprim17ROCPRIM_400000_NS6detail17trampoline_kernelINS0_14default_configENS1_21merge_config_selectorIiNS0_10empty_typeEEEZNS1_10merge_implIS3_N6thrust23THRUST_200600_302600_NS6detail15normal_iteratorINS9_10device_ptrIKiEEEESF_NSB_INSC_IiEEEEPS5_SI_SI_NS9_4lessIiEEEE10hipError_tPvRmT0_T1_T2_T3_T4_T5_mmT6_P12ihipStream_tbEUlT_E_NS1_11comp_targetILNS1_3genE5ELNS1_11target_archE942ELNS1_3gpuE9ELNS1_3repE0EEENS1_30default_config_static_selectorELNS0_4arch9wavefront6targetE0EEEvSP_.has_dyn_sized_stack, 0
	.set _ZN7rocprim17ROCPRIM_400000_NS6detail17trampoline_kernelINS0_14default_configENS1_21merge_config_selectorIiNS0_10empty_typeEEEZNS1_10merge_implIS3_N6thrust23THRUST_200600_302600_NS6detail15normal_iteratorINS9_10device_ptrIKiEEEESF_NSB_INSC_IiEEEEPS5_SI_SI_NS9_4lessIiEEEE10hipError_tPvRmT0_T1_T2_T3_T4_T5_mmT6_P12ihipStream_tbEUlT_E_NS1_11comp_targetILNS1_3genE5ELNS1_11target_archE942ELNS1_3gpuE9ELNS1_3repE0EEENS1_30default_config_static_selectorELNS0_4arch9wavefront6targetE0EEEvSP_.has_recursion, 0
	.set _ZN7rocprim17ROCPRIM_400000_NS6detail17trampoline_kernelINS0_14default_configENS1_21merge_config_selectorIiNS0_10empty_typeEEEZNS1_10merge_implIS3_N6thrust23THRUST_200600_302600_NS6detail15normal_iteratorINS9_10device_ptrIKiEEEESF_NSB_INSC_IiEEEEPS5_SI_SI_NS9_4lessIiEEEE10hipError_tPvRmT0_T1_T2_T3_T4_T5_mmT6_P12ihipStream_tbEUlT_E_NS1_11comp_targetILNS1_3genE5ELNS1_11target_archE942ELNS1_3gpuE9ELNS1_3repE0EEENS1_30default_config_static_selectorELNS0_4arch9wavefront6targetE0EEEvSP_.has_indirect_call, 0
	.section	.AMDGPU.csdata,"",@progbits
; Kernel info:
; codeLenInByte = 0
; TotalNumSgprs: 0
; NumVgprs: 0
; ScratchSize: 0
; MemoryBound: 0
; FloatMode: 240
; IeeeMode: 1
; LDSByteSize: 0 bytes/workgroup (compile time only)
; SGPRBlocks: 0
; VGPRBlocks: 0
; NumSGPRsForWavesPerEU: 1
; NumVGPRsForWavesPerEU: 1
; Occupancy: 16
; WaveLimiterHint : 0
; COMPUTE_PGM_RSRC2:SCRATCH_EN: 0
; COMPUTE_PGM_RSRC2:USER_SGPR: 6
; COMPUTE_PGM_RSRC2:TRAP_HANDLER: 0
; COMPUTE_PGM_RSRC2:TGID_X_EN: 1
; COMPUTE_PGM_RSRC2:TGID_Y_EN: 0
; COMPUTE_PGM_RSRC2:TGID_Z_EN: 0
; COMPUTE_PGM_RSRC2:TIDIG_COMP_CNT: 0
	.section	.text._ZN7rocprim17ROCPRIM_400000_NS6detail17trampoline_kernelINS0_14default_configENS1_21merge_config_selectorIiNS0_10empty_typeEEEZNS1_10merge_implIS3_N6thrust23THRUST_200600_302600_NS6detail15normal_iteratorINS9_10device_ptrIKiEEEESF_NSB_INSC_IiEEEEPS5_SI_SI_NS9_4lessIiEEEE10hipError_tPvRmT0_T1_T2_T3_T4_T5_mmT6_P12ihipStream_tbEUlT_E_NS1_11comp_targetILNS1_3genE4ELNS1_11target_archE910ELNS1_3gpuE8ELNS1_3repE0EEENS1_30default_config_static_selectorELNS0_4arch9wavefront6targetE0EEEvSP_,"axG",@progbits,_ZN7rocprim17ROCPRIM_400000_NS6detail17trampoline_kernelINS0_14default_configENS1_21merge_config_selectorIiNS0_10empty_typeEEEZNS1_10merge_implIS3_N6thrust23THRUST_200600_302600_NS6detail15normal_iteratorINS9_10device_ptrIKiEEEESF_NSB_INSC_IiEEEEPS5_SI_SI_NS9_4lessIiEEEE10hipError_tPvRmT0_T1_T2_T3_T4_T5_mmT6_P12ihipStream_tbEUlT_E_NS1_11comp_targetILNS1_3genE4ELNS1_11target_archE910ELNS1_3gpuE8ELNS1_3repE0EEENS1_30default_config_static_selectorELNS0_4arch9wavefront6targetE0EEEvSP_,comdat
	.protected	_ZN7rocprim17ROCPRIM_400000_NS6detail17trampoline_kernelINS0_14default_configENS1_21merge_config_selectorIiNS0_10empty_typeEEEZNS1_10merge_implIS3_N6thrust23THRUST_200600_302600_NS6detail15normal_iteratorINS9_10device_ptrIKiEEEESF_NSB_INSC_IiEEEEPS5_SI_SI_NS9_4lessIiEEEE10hipError_tPvRmT0_T1_T2_T3_T4_T5_mmT6_P12ihipStream_tbEUlT_E_NS1_11comp_targetILNS1_3genE4ELNS1_11target_archE910ELNS1_3gpuE8ELNS1_3repE0EEENS1_30default_config_static_selectorELNS0_4arch9wavefront6targetE0EEEvSP_ ; -- Begin function _ZN7rocprim17ROCPRIM_400000_NS6detail17trampoline_kernelINS0_14default_configENS1_21merge_config_selectorIiNS0_10empty_typeEEEZNS1_10merge_implIS3_N6thrust23THRUST_200600_302600_NS6detail15normal_iteratorINS9_10device_ptrIKiEEEESF_NSB_INSC_IiEEEEPS5_SI_SI_NS9_4lessIiEEEE10hipError_tPvRmT0_T1_T2_T3_T4_T5_mmT6_P12ihipStream_tbEUlT_E_NS1_11comp_targetILNS1_3genE4ELNS1_11target_archE910ELNS1_3gpuE8ELNS1_3repE0EEENS1_30default_config_static_selectorELNS0_4arch9wavefront6targetE0EEEvSP_
	.globl	_ZN7rocprim17ROCPRIM_400000_NS6detail17trampoline_kernelINS0_14default_configENS1_21merge_config_selectorIiNS0_10empty_typeEEEZNS1_10merge_implIS3_N6thrust23THRUST_200600_302600_NS6detail15normal_iteratorINS9_10device_ptrIKiEEEESF_NSB_INSC_IiEEEEPS5_SI_SI_NS9_4lessIiEEEE10hipError_tPvRmT0_T1_T2_T3_T4_T5_mmT6_P12ihipStream_tbEUlT_E_NS1_11comp_targetILNS1_3genE4ELNS1_11target_archE910ELNS1_3gpuE8ELNS1_3repE0EEENS1_30default_config_static_selectorELNS0_4arch9wavefront6targetE0EEEvSP_
	.p2align	8
	.type	_ZN7rocprim17ROCPRIM_400000_NS6detail17trampoline_kernelINS0_14default_configENS1_21merge_config_selectorIiNS0_10empty_typeEEEZNS1_10merge_implIS3_N6thrust23THRUST_200600_302600_NS6detail15normal_iteratorINS9_10device_ptrIKiEEEESF_NSB_INSC_IiEEEEPS5_SI_SI_NS9_4lessIiEEEE10hipError_tPvRmT0_T1_T2_T3_T4_T5_mmT6_P12ihipStream_tbEUlT_E_NS1_11comp_targetILNS1_3genE4ELNS1_11target_archE910ELNS1_3gpuE8ELNS1_3repE0EEENS1_30default_config_static_selectorELNS0_4arch9wavefront6targetE0EEEvSP_,@function
_ZN7rocprim17ROCPRIM_400000_NS6detail17trampoline_kernelINS0_14default_configENS1_21merge_config_selectorIiNS0_10empty_typeEEEZNS1_10merge_implIS3_N6thrust23THRUST_200600_302600_NS6detail15normal_iteratorINS9_10device_ptrIKiEEEESF_NSB_INSC_IiEEEEPS5_SI_SI_NS9_4lessIiEEEE10hipError_tPvRmT0_T1_T2_T3_T4_T5_mmT6_P12ihipStream_tbEUlT_E_NS1_11comp_targetILNS1_3genE4ELNS1_11target_archE910ELNS1_3gpuE8ELNS1_3repE0EEENS1_30default_config_static_selectorELNS0_4arch9wavefront6targetE0EEEvSP_: ; @_ZN7rocprim17ROCPRIM_400000_NS6detail17trampoline_kernelINS0_14default_configENS1_21merge_config_selectorIiNS0_10empty_typeEEEZNS1_10merge_implIS3_N6thrust23THRUST_200600_302600_NS6detail15normal_iteratorINS9_10device_ptrIKiEEEESF_NSB_INSC_IiEEEEPS5_SI_SI_NS9_4lessIiEEEE10hipError_tPvRmT0_T1_T2_T3_T4_T5_mmT6_P12ihipStream_tbEUlT_E_NS1_11comp_targetILNS1_3genE4ELNS1_11target_archE910ELNS1_3gpuE8ELNS1_3repE0EEENS1_30default_config_static_selectorELNS0_4arch9wavefront6targetE0EEEvSP_
; %bb.0:
	.section	.rodata,"a",@progbits
	.p2align	6, 0x0
	.amdhsa_kernel _ZN7rocprim17ROCPRIM_400000_NS6detail17trampoline_kernelINS0_14default_configENS1_21merge_config_selectorIiNS0_10empty_typeEEEZNS1_10merge_implIS3_N6thrust23THRUST_200600_302600_NS6detail15normal_iteratorINS9_10device_ptrIKiEEEESF_NSB_INSC_IiEEEEPS5_SI_SI_NS9_4lessIiEEEE10hipError_tPvRmT0_T1_T2_T3_T4_T5_mmT6_P12ihipStream_tbEUlT_E_NS1_11comp_targetILNS1_3genE4ELNS1_11target_archE910ELNS1_3gpuE8ELNS1_3repE0EEENS1_30default_config_static_selectorELNS0_4arch9wavefront6targetE0EEEvSP_
		.amdhsa_group_segment_fixed_size 0
		.amdhsa_private_segment_fixed_size 0
		.amdhsa_kernarg_size 48
		.amdhsa_user_sgpr_count 6
		.amdhsa_user_sgpr_private_segment_buffer 1
		.amdhsa_user_sgpr_dispatch_ptr 0
		.amdhsa_user_sgpr_queue_ptr 0
		.amdhsa_user_sgpr_kernarg_segment_ptr 1
		.amdhsa_user_sgpr_dispatch_id 0
		.amdhsa_user_sgpr_flat_scratch_init 0
		.amdhsa_user_sgpr_private_segment_size 0
		.amdhsa_wavefront_size32 1
		.amdhsa_uses_dynamic_stack 0
		.amdhsa_system_sgpr_private_segment_wavefront_offset 0
		.amdhsa_system_sgpr_workgroup_id_x 1
		.amdhsa_system_sgpr_workgroup_id_y 0
		.amdhsa_system_sgpr_workgroup_id_z 0
		.amdhsa_system_sgpr_workgroup_info 0
		.amdhsa_system_vgpr_workitem_id 0
		.amdhsa_next_free_vgpr 1
		.amdhsa_next_free_sgpr 1
		.amdhsa_reserve_vcc 0
		.amdhsa_reserve_flat_scratch 0
		.amdhsa_float_round_mode_32 0
		.amdhsa_float_round_mode_16_64 0
		.amdhsa_float_denorm_mode_32 3
		.amdhsa_float_denorm_mode_16_64 3
		.amdhsa_dx10_clamp 1
		.amdhsa_ieee_mode 1
		.amdhsa_fp16_overflow 0
		.amdhsa_workgroup_processor_mode 1
		.amdhsa_memory_ordered 1
		.amdhsa_forward_progress 1
		.amdhsa_shared_vgpr_count 0
		.amdhsa_exception_fp_ieee_invalid_op 0
		.amdhsa_exception_fp_denorm_src 0
		.amdhsa_exception_fp_ieee_div_zero 0
		.amdhsa_exception_fp_ieee_overflow 0
		.amdhsa_exception_fp_ieee_underflow 0
		.amdhsa_exception_fp_ieee_inexact 0
		.amdhsa_exception_int_div_zero 0
	.end_amdhsa_kernel
	.section	.text._ZN7rocprim17ROCPRIM_400000_NS6detail17trampoline_kernelINS0_14default_configENS1_21merge_config_selectorIiNS0_10empty_typeEEEZNS1_10merge_implIS3_N6thrust23THRUST_200600_302600_NS6detail15normal_iteratorINS9_10device_ptrIKiEEEESF_NSB_INSC_IiEEEEPS5_SI_SI_NS9_4lessIiEEEE10hipError_tPvRmT0_T1_T2_T3_T4_T5_mmT6_P12ihipStream_tbEUlT_E_NS1_11comp_targetILNS1_3genE4ELNS1_11target_archE910ELNS1_3gpuE8ELNS1_3repE0EEENS1_30default_config_static_selectorELNS0_4arch9wavefront6targetE0EEEvSP_,"axG",@progbits,_ZN7rocprim17ROCPRIM_400000_NS6detail17trampoline_kernelINS0_14default_configENS1_21merge_config_selectorIiNS0_10empty_typeEEEZNS1_10merge_implIS3_N6thrust23THRUST_200600_302600_NS6detail15normal_iteratorINS9_10device_ptrIKiEEEESF_NSB_INSC_IiEEEEPS5_SI_SI_NS9_4lessIiEEEE10hipError_tPvRmT0_T1_T2_T3_T4_T5_mmT6_P12ihipStream_tbEUlT_E_NS1_11comp_targetILNS1_3genE4ELNS1_11target_archE910ELNS1_3gpuE8ELNS1_3repE0EEENS1_30default_config_static_selectorELNS0_4arch9wavefront6targetE0EEEvSP_,comdat
.Lfunc_end3:
	.size	_ZN7rocprim17ROCPRIM_400000_NS6detail17trampoline_kernelINS0_14default_configENS1_21merge_config_selectorIiNS0_10empty_typeEEEZNS1_10merge_implIS3_N6thrust23THRUST_200600_302600_NS6detail15normal_iteratorINS9_10device_ptrIKiEEEESF_NSB_INSC_IiEEEEPS5_SI_SI_NS9_4lessIiEEEE10hipError_tPvRmT0_T1_T2_T3_T4_T5_mmT6_P12ihipStream_tbEUlT_E_NS1_11comp_targetILNS1_3genE4ELNS1_11target_archE910ELNS1_3gpuE8ELNS1_3repE0EEENS1_30default_config_static_selectorELNS0_4arch9wavefront6targetE0EEEvSP_, .Lfunc_end3-_ZN7rocprim17ROCPRIM_400000_NS6detail17trampoline_kernelINS0_14default_configENS1_21merge_config_selectorIiNS0_10empty_typeEEEZNS1_10merge_implIS3_N6thrust23THRUST_200600_302600_NS6detail15normal_iteratorINS9_10device_ptrIKiEEEESF_NSB_INSC_IiEEEEPS5_SI_SI_NS9_4lessIiEEEE10hipError_tPvRmT0_T1_T2_T3_T4_T5_mmT6_P12ihipStream_tbEUlT_E_NS1_11comp_targetILNS1_3genE4ELNS1_11target_archE910ELNS1_3gpuE8ELNS1_3repE0EEENS1_30default_config_static_selectorELNS0_4arch9wavefront6targetE0EEEvSP_
                                        ; -- End function
	.set _ZN7rocprim17ROCPRIM_400000_NS6detail17trampoline_kernelINS0_14default_configENS1_21merge_config_selectorIiNS0_10empty_typeEEEZNS1_10merge_implIS3_N6thrust23THRUST_200600_302600_NS6detail15normal_iteratorINS9_10device_ptrIKiEEEESF_NSB_INSC_IiEEEEPS5_SI_SI_NS9_4lessIiEEEE10hipError_tPvRmT0_T1_T2_T3_T4_T5_mmT6_P12ihipStream_tbEUlT_E_NS1_11comp_targetILNS1_3genE4ELNS1_11target_archE910ELNS1_3gpuE8ELNS1_3repE0EEENS1_30default_config_static_selectorELNS0_4arch9wavefront6targetE0EEEvSP_.num_vgpr, 0
	.set _ZN7rocprim17ROCPRIM_400000_NS6detail17trampoline_kernelINS0_14default_configENS1_21merge_config_selectorIiNS0_10empty_typeEEEZNS1_10merge_implIS3_N6thrust23THRUST_200600_302600_NS6detail15normal_iteratorINS9_10device_ptrIKiEEEESF_NSB_INSC_IiEEEEPS5_SI_SI_NS9_4lessIiEEEE10hipError_tPvRmT0_T1_T2_T3_T4_T5_mmT6_P12ihipStream_tbEUlT_E_NS1_11comp_targetILNS1_3genE4ELNS1_11target_archE910ELNS1_3gpuE8ELNS1_3repE0EEENS1_30default_config_static_selectorELNS0_4arch9wavefront6targetE0EEEvSP_.num_agpr, 0
	.set _ZN7rocprim17ROCPRIM_400000_NS6detail17trampoline_kernelINS0_14default_configENS1_21merge_config_selectorIiNS0_10empty_typeEEEZNS1_10merge_implIS3_N6thrust23THRUST_200600_302600_NS6detail15normal_iteratorINS9_10device_ptrIKiEEEESF_NSB_INSC_IiEEEEPS5_SI_SI_NS9_4lessIiEEEE10hipError_tPvRmT0_T1_T2_T3_T4_T5_mmT6_P12ihipStream_tbEUlT_E_NS1_11comp_targetILNS1_3genE4ELNS1_11target_archE910ELNS1_3gpuE8ELNS1_3repE0EEENS1_30default_config_static_selectorELNS0_4arch9wavefront6targetE0EEEvSP_.numbered_sgpr, 0
	.set _ZN7rocprim17ROCPRIM_400000_NS6detail17trampoline_kernelINS0_14default_configENS1_21merge_config_selectorIiNS0_10empty_typeEEEZNS1_10merge_implIS3_N6thrust23THRUST_200600_302600_NS6detail15normal_iteratorINS9_10device_ptrIKiEEEESF_NSB_INSC_IiEEEEPS5_SI_SI_NS9_4lessIiEEEE10hipError_tPvRmT0_T1_T2_T3_T4_T5_mmT6_P12ihipStream_tbEUlT_E_NS1_11comp_targetILNS1_3genE4ELNS1_11target_archE910ELNS1_3gpuE8ELNS1_3repE0EEENS1_30default_config_static_selectorELNS0_4arch9wavefront6targetE0EEEvSP_.num_named_barrier, 0
	.set _ZN7rocprim17ROCPRIM_400000_NS6detail17trampoline_kernelINS0_14default_configENS1_21merge_config_selectorIiNS0_10empty_typeEEEZNS1_10merge_implIS3_N6thrust23THRUST_200600_302600_NS6detail15normal_iteratorINS9_10device_ptrIKiEEEESF_NSB_INSC_IiEEEEPS5_SI_SI_NS9_4lessIiEEEE10hipError_tPvRmT0_T1_T2_T3_T4_T5_mmT6_P12ihipStream_tbEUlT_E_NS1_11comp_targetILNS1_3genE4ELNS1_11target_archE910ELNS1_3gpuE8ELNS1_3repE0EEENS1_30default_config_static_selectorELNS0_4arch9wavefront6targetE0EEEvSP_.private_seg_size, 0
	.set _ZN7rocprim17ROCPRIM_400000_NS6detail17trampoline_kernelINS0_14default_configENS1_21merge_config_selectorIiNS0_10empty_typeEEEZNS1_10merge_implIS3_N6thrust23THRUST_200600_302600_NS6detail15normal_iteratorINS9_10device_ptrIKiEEEESF_NSB_INSC_IiEEEEPS5_SI_SI_NS9_4lessIiEEEE10hipError_tPvRmT0_T1_T2_T3_T4_T5_mmT6_P12ihipStream_tbEUlT_E_NS1_11comp_targetILNS1_3genE4ELNS1_11target_archE910ELNS1_3gpuE8ELNS1_3repE0EEENS1_30default_config_static_selectorELNS0_4arch9wavefront6targetE0EEEvSP_.uses_vcc, 0
	.set _ZN7rocprim17ROCPRIM_400000_NS6detail17trampoline_kernelINS0_14default_configENS1_21merge_config_selectorIiNS0_10empty_typeEEEZNS1_10merge_implIS3_N6thrust23THRUST_200600_302600_NS6detail15normal_iteratorINS9_10device_ptrIKiEEEESF_NSB_INSC_IiEEEEPS5_SI_SI_NS9_4lessIiEEEE10hipError_tPvRmT0_T1_T2_T3_T4_T5_mmT6_P12ihipStream_tbEUlT_E_NS1_11comp_targetILNS1_3genE4ELNS1_11target_archE910ELNS1_3gpuE8ELNS1_3repE0EEENS1_30default_config_static_selectorELNS0_4arch9wavefront6targetE0EEEvSP_.uses_flat_scratch, 0
	.set _ZN7rocprim17ROCPRIM_400000_NS6detail17trampoline_kernelINS0_14default_configENS1_21merge_config_selectorIiNS0_10empty_typeEEEZNS1_10merge_implIS3_N6thrust23THRUST_200600_302600_NS6detail15normal_iteratorINS9_10device_ptrIKiEEEESF_NSB_INSC_IiEEEEPS5_SI_SI_NS9_4lessIiEEEE10hipError_tPvRmT0_T1_T2_T3_T4_T5_mmT6_P12ihipStream_tbEUlT_E_NS1_11comp_targetILNS1_3genE4ELNS1_11target_archE910ELNS1_3gpuE8ELNS1_3repE0EEENS1_30default_config_static_selectorELNS0_4arch9wavefront6targetE0EEEvSP_.has_dyn_sized_stack, 0
	.set _ZN7rocprim17ROCPRIM_400000_NS6detail17trampoline_kernelINS0_14default_configENS1_21merge_config_selectorIiNS0_10empty_typeEEEZNS1_10merge_implIS3_N6thrust23THRUST_200600_302600_NS6detail15normal_iteratorINS9_10device_ptrIKiEEEESF_NSB_INSC_IiEEEEPS5_SI_SI_NS9_4lessIiEEEE10hipError_tPvRmT0_T1_T2_T3_T4_T5_mmT6_P12ihipStream_tbEUlT_E_NS1_11comp_targetILNS1_3genE4ELNS1_11target_archE910ELNS1_3gpuE8ELNS1_3repE0EEENS1_30default_config_static_selectorELNS0_4arch9wavefront6targetE0EEEvSP_.has_recursion, 0
	.set _ZN7rocprim17ROCPRIM_400000_NS6detail17trampoline_kernelINS0_14default_configENS1_21merge_config_selectorIiNS0_10empty_typeEEEZNS1_10merge_implIS3_N6thrust23THRUST_200600_302600_NS6detail15normal_iteratorINS9_10device_ptrIKiEEEESF_NSB_INSC_IiEEEEPS5_SI_SI_NS9_4lessIiEEEE10hipError_tPvRmT0_T1_T2_T3_T4_T5_mmT6_P12ihipStream_tbEUlT_E_NS1_11comp_targetILNS1_3genE4ELNS1_11target_archE910ELNS1_3gpuE8ELNS1_3repE0EEENS1_30default_config_static_selectorELNS0_4arch9wavefront6targetE0EEEvSP_.has_indirect_call, 0
	.section	.AMDGPU.csdata,"",@progbits
; Kernel info:
; codeLenInByte = 0
; TotalNumSgprs: 0
; NumVgprs: 0
; ScratchSize: 0
; MemoryBound: 0
; FloatMode: 240
; IeeeMode: 1
; LDSByteSize: 0 bytes/workgroup (compile time only)
; SGPRBlocks: 0
; VGPRBlocks: 0
; NumSGPRsForWavesPerEU: 1
; NumVGPRsForWavesPerEU: 1
; Occupancy: 16
; WaveLimiterHint : 0
; COMPUTE_PGM_RSRC2:SCRATCH_EN: 0
; COMPUTE_PGM_RSRC2:USER_SGPR: 6
; COMPUTE_PGM_RSRC2:TRAP_HANDLER: 0
; COMPUTE_PGM_RSRC2:TGID_X_EN: 1
; COMPUTE_PGM_RSRC2:TGID_Y_EN: 0
; COMPUTE_PGM_RSRC2:TGID_Z_EN: 0
; COMPUTE_PGM_RSRC2:TIDIG_COMP_CNT: 0
	.section	.text._ZN7rocprim17ROCPRIM_400000_NS6detail17trampoline_kernelINS0_14default_configENS1_21merge_config_selectorIiNS0_10empty_typeEEEZNS1_10merge_implIS3_N6thrust23THRUST_200600_302600_NS6detail15normal_iteratorINS9_10device_ptrIKiEEEESF_NSB_INSC_IiEEEEPS5_SI_SI_NS9_4lessIiEEEE10hipError_tPvRmT0_T1_T2_T3_T4_T5_mmT6_P12ihipStream_tbEUlT_E_NS1_11comp_targetILNS1_3genE3ELNS1_11target_archE908ELNS1_3gpuE7ELNS1_3repE0EEENS1_30default_config_static_selectorELNS0_4arch9wavefront6targetE0EEEvSP_,"axG",@progbits,_ZN7rocprim17ROCPRIM_400000_NS6detail17trampoline_kernelINS0_14default_configENS1_21merge_config_selectorIiNS0_10empty_typeEEEZNS1_10merge_implIS3_N6thrust23THRUST_200600_302600_NS6detail15normal_iteratorINS9_10device_ptrIKiEEEESF_NSB_INSC_IiEEEEPS5_SI_SI_NS9_4lessIiEEEE10hipError_tPvRmT0_T1_T2_T3_T4_T5_mmT6_P12ihipStream_tbEUlT_E_NS1_11comp_targetILNS1_3genE3ELNS1_11target_archE908ELNS1_3gpuE7ELNS1_3repE0EEENS1_30default_config_static_selectorELNS0_4arch9wavefront6targetE0EEEvSP_,comdat
	.protected	_ZN7rocprim17ROCPRIM_400000_NS6detail17trampoline_kernelINS0_14default_configENS1_21merge_config_selectorIiNS0_10empty_typeEEEZNS1_10merge_implIS3_N6thrust23THRUST_200600_302600_NS6detail15normal_iteratorINS9_10device_ptrIKiEEEESF_NSB_INSC_IiEEEEPS5_SI_SI_NS9_4lessIiEEEE10hipError_tPvRmT0_T1_T2_T3_T4_T5_mmT6_P12ihipStream_tbEUlT_E_NS1_11comp_targetILNS1_3genE3ELNS1_11target_archE908ELNS1_3gpuE7ELNS1_3repE0EEENS1_30default_config_static_selectorELNS0_4arch9wavefront6targetE0EEEvSP_ ; -- Begin function _ZN7rocprim17ROCPRIM_400000_NS6detail17trampoline_kernelINS0_14default_configENS1_21merge_config_selectorIiNS0_10empty_typeEEEZNS1_10merge_implIS3_N6thrust23THRUST_200600_302600_NS6detail15normal_iteratorINS9_10device_ptrIKiEEEESF_NSB_INSC_IiEEEEPS5_SI_SI_NS9_4lessIiEEEE10hipError_tPvRmT0_T1_T2_T3_T4_T5_mmT6_P12ihipStream_tbEUlT_E_NS1_11comp_targetILNS1_3genE3ELNS1_11target_archE908ELNS1_3gpuE7ELNS1_3repE0EEENS1_30default_config_static_selectorELNS0_4arch9wavefront6targetE0EEEvSP_
	.globl	_ZN7rocprim17ROCPRIM_400000_NS6detail17trampoline_kernelINS0_14default_configENS1_21merge_config_selectorIiNS0_10empty_typeEEEZNS1_10merge_implIS3_N6thrust23THRUST_200600_302600_NS6detail15normal_iteratorINS9_10device_ptrIKiEEEESF_NSB_INSC_IiEEEEPS5_SI_SI_NS9_4lessIiEEEE10hipError_tPvRmT0_T1_T2_T3_T4_T5_mmT6_P12ihipStream_tbEUlT_E_NS1_11comp_targetILNS1_3genE3ELNS1_11target_archE908ELNS1_3gpuE7ELNS1_3repE0EEENS1_30default_config_static_selectorELNS0_4arch9wavefront6targetE0EEEvSP_
	.p2align	8
	.type	_ZN7rocprim17ROCPRIM_400000_NS6detail17trampoline_kernelINS0_14default_configENS1_21merge_config_selectorIiNS0_10empty_typeEEEZNS1_10merge_implIS3_N6thrust23THRUST_200600_302600_NS6detail15normal_iteratorINS9_10device_ptrIKiEEEESF_NSB_INSC_IiEEEEPS5_SI_SI_NS9_4lessIiEEEE10hipError_tPvRmT0_T1_T2_T3_T4_T5_mmT6_P12ihipStream_tbEUlT_E_NS1_11comp_targetILNS1_3genE3ELNS1_11target_archE908ELNS1_3gpuE7ELNS1_3repE0EEENS1_30default_config_static_selectorELNS0_4arch9wavefront6targetE0EEEvSP_,@function
_ZN7rocprim17ROCPRIM_400000_NS6detail17trampoline_kernelINS0_14default_configENS1_21merge_config_selectorIiNS0_10empty_typeEEEZNS1_10merge_implIS3_N6thrust23THRUST_200600_302600_NS6detail15normal_iteratorINS9_10device_ptrIKiEEEESF_NSB_INSC_IiEEEEPS5_SI_SI_NS9_4lessIiEEEE10hipError_tPvRmT0_T1_T2_T3_T4_T5_mmT6_P12ihipStream_tbEUlT_E_NS1_11comp_targetILNS1_3genE3ELNS1_11target_archE908ELNS1_3gpuE7ELNS1_3repE0EEENS1_30default_config_static_selectorELNS0_4arch9wavefront6targetE0EEEvSP_: ; @_ZN7rocprim17ROCPRIM_400000_NS6detail17trampoline_kernelINS0_14default_configENS1_21merge_config_selectorIiNS0_10empty_typeEEEZNS1_10merge_implIS3_N6thrust23THRUST_200600_302600_NS6detail15normal_iteratorINS9_10device_ptrIKiEEEESF_NSB_INSC_IiEEEEPS5_SI_SI_NS9_4lessIiEEEE10hipError_tPvRmT0_T1_T2_T3_T4_T5_mmT6_P12ihipStream_tbEUlT_E_NS1_11comp_targetILNS1_3genE3ELNS1_11target_archE908ELNS1_3gpuE7ELNS1_3repE0EEENS1_30default_config_static_selectorELNS0_4arch9wavefront6targetE0EEEvSP_
; %bb.0:
	.section	.rodata,"a",@progbits
	.p2align	6, 0x0
	.amdhsa_kernel _ZN7rocprim17ROCPRIM_400000_NS6detail17trampoline_kernelINS0_14default_configENS1_21merge_config_selectorIiNS0_10empty_typeEEEZNS1_10merge_implIS3_N6thrust23THRUST_200600_302600_NS6detail15normal_iteratorINS9_10device_ptrIKiEEEESF_NSB_INSC_IiEEEEPS5_SI_SI_NS9_4lessIiEEEE10hipError_tPvRmT0_T1_T2_T3_T4_T5_mmT6_P12ihipStream_tbEUlT_E_NS1_11comp_targetILNS1_3genE3ELNS1_11target_archE908ELNS1_3gpuE7ELNS1_3repE0EEENS1_30default_config_static_selectorELNS0_4arch9wavefront6targetE0EEEvSP_
		.amdhsa_group_segment_fixed_size 0
		.amdhsa_private_segment_fixed_size 0
		.amdhsa_kernarg_size 48
		.amdhsa_user_sgpr_count 6
		.amdhsa_user_sgpr_private_segment_buffer 1
		.amdhsa_user_sgpr_dispatch_ptr 0
		.amdhsa_user_sgpr_queue_ptr 0
		.amdhsa_user_sgpr_kernarg_segment_ptr 1
		.amdhsa_user_sgpr_dispatch_id 0
		.amdhsa_user_sgpr_flat_scratch_init 0
		.amdhsa_user_sgpr_private_segment_size 0
		.amdhsa_wavefront_size32 1
		.amdhsa_uses_dynamic_stack 0
		.amdhsa_system_sgpr_private_segment_wavefront_offset 0
		.amdhsa_system_sgpr_workgroup_id_x 1
		.amdhsa_system_sgpr_workgroup_id_y 0
		.amdhsa_system_sgpr_workgroup_id_z 0
		.amdhsa_system_sgpr_workgroup_info 0
		.amdhsa_system_vgpr_workitem_id 0
		.amdhsa_next_free_vgpr 1
		.amdhsa_next_free_sgpr 1
		.amdhsa_reserve_vcc 0
		.amdhsa_reserve_flat_scratch 0
		.amdhsa_float_round_mode_32 0
		.amdhsa_float_round_mode_16_64 0
		.amdhsa_float_denorm_mode_32 3
		.amdhsa_float_denorm_mode_16_64 3
		.amdhsa_dx10_clamp 1
		.amdhsa_ieee_mode 1
		.amdhsa_fp16_overflow 0
		.amdhsa_workgroup_processor_mode 1
		.amdhsa_memory_ordered 1
		.amdhsa_forward_progress 1
		.amdhsa_shared_vgpr_count 0
		.amdhsa_exception_fp_ieee_invalid_op 0
		.amdhsa_exception_fp_denorm_src 0
		.amdhsa_exception_fp_ieee_div_zero 0
		.amdhsa_exception_fp_ieee_overflow 0
		.amdhsa_exception_fp_ieee_underflow 0
		.amdhsa_exception_fp_ieee_inexact 0
		.amdhsa_exception_int_div_zero 0
	.end_amdhsa_kernel
	.section	.text._ZN7rocprim17ROCPRIM_400000_NS6detail17trampoline_kernelINS0_14default_configENS1_21merge_config_selectorIiNS0_10empty_typeEEEZNS1_10merge_implIS3_N6thrust23THRUST_200600_302600_NS6detail15normal_iteratorINS9_10device_ptrIKiEEEESF_NSB_INSC_IiEEEEPS5_SI_SI_NS9_4lessIiEEEE10hipError_tPvRmT0_T1_T2_T3_T4_T5_mmT6_P12ihipStream_tbEUlT_E_NS1_11comp_targetILNS1_3genE3ELNS1_11target_archE908ELNS1_3gpuE7ELNS1_3repE0EEENS1_30default_config_static_selectorELNS0_4arch9wavefront6targetE0EEEvSP_,"axG",@progbits,_ZN7rocprim17ROCPRIM_400000_NS6detail17trampoline_kernelINS0_14default_configENS1_21merge_config_selectorIiNS0_10empty_typeEEEZNS1_10merge_implIS3_N6thrust23THRUST_200600_302600_NS6detail15normal_iteratorINS9_10device_ptrIKiEEEESF_NSB_INSC_IiEEEEPS5_SI_SI_NS9_4lessIiEEEE10hipError_tPvRmT0_T1_T2_T3_T4_T5_mmT6_P12ihipStream_tbEUlT_E_NS1_11comp_targetILNS1_3genE3ELNS1_11target_archE908ELNS1_3gpuE7ELNS1_3repE0EEENS1_30default_config_static_selectorELNS0_4arch9wavefront6targetE0EEEvSP_,comdat
.Lfunc_end4:
	.size	_ZN7rocprim17ROCPRIM_400000_NS6detail17trampoline_kernelINS0_14default_configENS1_21merge_config_selectorIiNS0_10empty_typeEEEZNS1_10merge_implIS3_N6thrust23THRUST_200600_302600_NS6detail15normal_iteratorINS9_10device_ptrIKiEEEESF_NSB_INSC_IiEEEEPS5_SI_SI_NS9_4lessIiEEEE10hipError_tPvRmT0_T1_T2_T3_T4_T5_mmT6_P12ihipStream_tbEUlT_E_NS1_11comp_targetILNS1_3genE3ELNS1_11target_archE908ELNS1_3gpuE7ELNS1_3repE0EEENS1_30default_config_static_selectorELNS0_4arch9wavefront6targetE0EEEvSP_, .Lfunc_end4-_ZN7rocprim17ROCPRIM_400000_NS6detail17trampoline_kernelINS0_14default_configENS1_21merge_config_selectorIiNS0_10empty_typeEEEZNS1_10merge_implIS3_N6thrust23THRUST_200600_302600_NS6detail15normal_iteratorINS9_10device_ptrIKiEEEESF_NSB_INSC_IiEEEEPS5_SI_SI_NS9_4lessIiEEEE10hipError_tPvRmT0_T1_T2_T3_T4_T5_mmT6_P12ihipStream_tbEUlT_E_NS1_11comp_targetILNS1_3genE3ELNS1_11target_archE908ELNS1_3gpuE7ELNS1_3repE0EEENS1_30default_config_static_selectorELNS0_4arch9wavefront6targetE0EEEvSP_
                                        ; -- End function
	.set _ZN7rocprim17ROCPRIM_400000_NS6detail17trampoline_kernelINS0_14default_configENS1_21merge_config_selectorIiNS0_10empty_typeEEEZNS1_10merge_implIS3_N6thrust23THRUST_200600_302600_NS6detail15normal_iteratorINS9_10device_ptrIKiEEEESF_NSB_INSC_IiEEEEPS5_SI_SI_NS9_4lessIiEEEE10hipError_tPvRmT0_T1_T2_T3_T4_T5_mmT6_P12ihipStream_tbEUlT_E_NS1_11comp_targetILNS1_3genE3ELNS1_11target_archE908ELNS1_3gpuE7ELNS1_3repE0EEENS1_30default_config_static_selectorELNS0_4arch9wavefront6targetE0EEEvSP_.num_vgpr, 0
	.set _ZN7rocprim17ROCPRIM_400000_NS6detail17trampoline_kernelINS0_14default_configENS1_21merge_config_selectorIiNS0_10empty_typeEEEZNS1_10merge_implIS3_N6thrust23THRUST_200600_302600_NS6detail15normal_iteratorINS9_10device_ptrIKiEEEESF_NSB_INSC_IiEEEEPS5_SI_SI_NS9_4lessIiEEEE10hipError_tPvRmT0_T1_T2_T3_T4_T5_mmT6_P12ihipStream_tbEUlT_E_NS1_11comp_targetILNS1_3genE3ELNS1_11target_archE908ELNS1_3gpuE7ELNS1_3repE0EEENS1_30default_config_static_selectorELNS0_4arch9wavefront6targetE0EEEvSP_.num_agpr, 0
	.set _ZN7rocprim17ROCPRIM_400000_NS6detail17trampoline_kernelINS0_14default_configENS1_21merge_config_selectorIiNS0_10empty_typeEEEZNS1_10merge_implIS3_N6thrust23THRUST_200600_302600_NS6detail15normal_iteratorINS9_10device_ptrIKiEEEESF_NSB_INSC_IiEEEEPS5_SI_SI_NS9_4lessIiEEEE10hipError_tPvRmT0_T1_T2_T3_T4_T5_mmT6_P12ihipStream_tbEUlT_E_NS1_11comp_targetILNS1_3genE3ELNS1_11target_archE908ELNS1_3gpuE7ELNS1_3repE0EEENS1_30default_config_static_selectorELNS0_4arch9wavefront6targetE0EEEvSP_.numbered_sgpr, 0
	.set _ZN7rocprim17ROCPRIM_400000_NS6detail17trampoline_kernelINS0_14default_configENS1_21merge_config_selectorIiNS0_10empty_typeEEEZNS1_10merge_implIS3_N6thrust23THRUST_200600_302600_NS6detail15normal_iteratorINS9_10device_ptrIKiEEEESF_NSB_INSC_IiEEEEPS5_SI_SI_NS9_4lessIiEEEE10hipError_tPvRmT0_T1_T2_T3_T4_T5_mmT6_P12ihipStream_tbEUlT_E_NS1_11comp_targetILNS1_3genE3ELNS1_11target_archE908ELNS1_3gpuE7ELNS1_3repE0EEENS1_30default_config_static_selectorELNS0_4arch9wavefront6targetE0EEEvSP_.num_named_barrier, 0
	.set _ZN7rocprim17ROCPRIM_400000_NS6detail17trampoline_kernelINS0_14default_configENS1_21merge_config_selectorIiNS0_10empty_typeEEEZNS1_10merge_implIS3_N6thrust23THRUST_200600_302600_NS6detail15normal_iteratorINS9_10device_ptrIKiEEEESF_NSB_INSC_IiEEEEPS5_SI_SI_NS9_4lessIiEEEE10hipError_tPvRmT0_T1_T2_T3_T4_T5_mmT6_P12ihipStream_tbEUlT_E_NS1_11comp_targetILNS1_3genE3ELNS1_11target_archE908ELNS1_3gpuE7ELNS1_3repE0EEENS1_30default_config_static_selectorELNS0_4arch9wavefront6targetE0EEEvSP_.private_seg_size, 0
	.set _ZN7rocprim17ROCPRIM_400000_NS6detail17trampoline_kernelINS0_14default_configENS1_21merge_config_selectorIiNS0_10empty_typeEEEZNS1_10merge_implIS3_N6thrust23THRUST_200600_302600_NS6detail15normal_iteratorINS9_10device_ptrIKiEEEESF_NSB_INSC_IiEEEEPS5_SI_SI_NS9_4lessIiEEEE10hipError_tPvRmT0_T1_T2_T3_T4_T5_mmT6_P12ihipStream_tbEUlT_E_NS1_11comp_targetILNS1_3genE3ELNS1_11target_archE908ELNS1_3gpuE7ELNS1_3repE0EEENS1_30default_config_static_selectorELNS0_4arch9wavefront6targetE0EEEvSP_.uses_vcc, 0
	.set _ZN7rocprim17ROCPRIM_400000_NS6detail17trampoline_kernelINS0_14default_configENS1_21merge_config_selectorIiNS0_10empty_typeEEEZNS1_10merge_implIS3_N6thrust23THRUST_200600_302600_NS6detail15normal_iteratorINS9_10device_ptrIKiEEEESF_NSB_INSC_IiEEEEPS5_SI_SI_NS9_4lessIiEEEE10hipError_tPvRmT0_T1_T2_T3_T4_T5_mmT6_P12ihipStream_tbEUlT_E_NS1_11comp_targetILNS1_3genE3ELNS1_11target_archE908ELNS1_3gpuE7ELNS1_3repE0EEENS1_30default_config_static_selectorELNS0_4arch9wavefront6targetE0EEEvSP_.uses_flat_scratch, 0
	.set _ZN7rocprim17ROCPRIM_400000_NS6detail17trampoline_kernelINS0_14default_configENS1_21merge_config_selectorIiNS0_10empty_typeEEEZNS1_10merge_implIS3_N6thrust23THRUST_200600_302600_NS6detail15normal_iteratorINS9_10device_ptrIKiEEEESF_NSB_INSC_IiEEEEPS5_SI_SI_NS9_4lessIiEEEE10hipError_tPvRmT0_T1_T2_T3_T4_T5_mmT6_P12ihipStream_tbEUlT_E_NS1_11comp_targetILNS1_3genE3ELNS1_11target_archE908ELNS1_3gpuE7ELNS1_3repE0EEENS1_30default_config_static_selectorELNS0_4arch9wavefront6targetE0EEEvSP_.has_dyn_sized_stack, 0
	.set _ZN7rocprim17ROCPRIM_400000_NS6detail17trampoline_kernelINS0_14default_configENS1_21merge_config_selectorIiNS0_10empty_typeEEEZNS1_10merge_implIS3_N6thrust23THRUST_200600_302600_NS6detail15normal_iteratorINS9_10device_ptrIKiEEEESF_NSB_INSC_IiEEEEPS5_SI_SI_NS9_4lessIiEEEE10hipError_tPvRmT0_T1_T2_T3_T4_T5_mmT6_P12ihipStream_tbEUlT_E_NS1_11comp_targetILNS1_3genE3ELNS1_11target_archE908ELNS1_3gpuE7ELNS1_3repE0EEENS1_30default_config_static_selectorELNS0_4arch9wavefront6targetE0EEEvSP_.has_recursion, 0
	.set _ZN7rocprim17ROCPRIM_400000_NS6detail17trampoline_kernelINS0_14default_configENS1_21merge_config_selectorIiNS0_10empty_typeEEEZNS1_10merge_implIS3_N6thrust23THRUST_200600_302600_NS6detail15normal_iteratorINS9_10device_ptrIKiEEEESF_NSB_INSC_IiEEEEPS5_SI_SI_NS9_4lessIiEEEE10hipError_tPvRmT0_T1_T2_T3_T4_T5_mmT6_P12ihipStream_tbEUlT_E_NS1_11comp_targetILNS1_3genE3ELNS1_11target_archE908ELNS1_3gpuE7ELNS1_3repE0EEENS1_30default_config_static_selectorELNS0_4arch9wavefront6targetE0EEEvSP_.has_indirect_call, 0
	.section	.AMDGPU.csdata,"",@progbits
; Kernel info:
; codeLenInByte = 0
; TotalNumSgprs: 0
; NumVgprs: 0
; ScratchSize: 0
; MemoryBound: 0
; FloatMode: 240
; IeeeMode: 1
; LDSByteSize: 0 bytes/workgroup (compile time only)
; SGPRBlocks: 0
; VGPRBlocks: 0
; NumSGPRsForWavesPerEU: 1
; NumVGPRsForWavesPerEU: 1
; Occupancy: 16
; WaveLimiterHint : 0
; COMPUTE_PGM_RSRC2:SCRATCH_EN: 0
; COMPUTE_PGM_RSRC2:USER_SGPR: 6
; COMPUTE_PGM_RSRC2:TRAP_HANDLER: 0
; COMPUTE_PGM_RSRC2:TGID_X_EN: 1
; COMPUTE_PGM_RSRC2:TGID_Y_EN: 0
; COMPUTE_PGM_RSRC2:TGID_Z_EN: 0
; COMPUTE_PGM_RSRC2:TIDIG_COMP_CNT: 0
	.section	.text._ZN7rocprim17ROCPRIM_400000_NS6detail17trampoline_kernelINS0_14default_configENS1_21merge_config_selectorIiNS0_10empty_typeEEEZNS1_10merge_implIS3_N6thrust23THRUST_200600_302600_NS6detail15normal_iteratorINS9_10device_ptrIKiEEEESF_NSB_INSC_IiEEEEPS5_SI_SI_NS9_4lessIiEEEE10hipError_tPvRmT0_T1_T2_T3_T4_T5_mmT6_P12ihipStream_tbEUlT_E_NS1_11comp_targetILNS1_3genE2ELNS1_11target_archE906ELNS1_3gpuE6ELNS1_3repE0EEENS1_30default_config_static_selectorELNS0_4arch9wavefront6targetE0EEEvSP_,"axG",@progbits,_ZN7rocprim17ROCPRIM_400000_NS6detail17trampoline_kernelINS0_14default_configENS1_21merge_config_selectorIiNS0_10empty_typeEEEZNS1_10merge_implIS3_N6thrust23THRUST_200600_302600_NS6detail15normal_iteratorINS9_10device_ptrIKiEEEESF_NSB_INSC_IiEEEEPS5_SI_SI_NS9_4lessIiEEEE10hipError_tPvRmT0_T1_T2_T3_T4_T5_mmT6_P12ihipStream_tbEUlT_E_NS1_11comp_targetILNS1_3genE2ELNS1_11target_archE906ELNS1_3gpuE6ELNS1_3repE0EEENS1_30default_config_static_selectorELNS0_4arch9wavefront6targetE0EEEvSP_,comdat
	.protected	_ZN7rocprim17ROCPRIM_400000_NS6detail17trampoline_kernelINS0_14default_configENS1_21merge_config_selectorIiNS0_10empty_typeEEEZNS1_10merge_implIS3_N6thrust23THRUST_200600_302600_NS6detail15normal_iteratorINS9_10device_ptrIKiEEEESF_NSB_INSC_IiEEEEPS5_SI_SI_NS9_4lessIiEEEE10hipError_tPvRmT0_T1_T2_T3_T4_T5_mmT6_P12ihipStream_tbEUlT_E_NS1_11comp_targetILNS1_3genE2ELNS1_11target_archE906ELNS1_3gpuE6ELNS1_3repE0EEENS1_30default_config_static_selectorELNS0_4arch9wavefront6targetE0EEEvSP_ ; -- Begin function _ZN7rocprim17ROCPRIM_400000_NS6detail17trampoline_kernelINS0_14default_configENS1_21merge_config_selectorIiNS0_10empty_typeEEEZNS1_10merge_implIS3_N6thrust23THRUST_200600_302600_NS6detail15normal_iteratorINS9_10device_ptrIKiEEEESF_NSB_INSC_IiEEEEPS5_SI_SI_NS9_4lessIiEEEE10hipError_tPvRmT0_T1_T2_T3_T4_T5_mmT6_P12ihipStream_tbEUlT_E_NS1_11comp_targetILNS1_3genE2ELNS1_11target_archE906ELNS1_3gpuE6ELNS1_3repE0EEENS1_30default_config_static_selectorELNS0_4arch9wavefront6targetE0EEEvSP_
	.globl	_ZN7rocprim17ROCPRIM_400000_NS6detail17trampoline_kernelINS0_14default_configENS1_21merge_config_selectorIiNS0_10empty_typeEEEZNS1_10merge_implIS3_N6thrust23THRUST_200600_302600_NS6detail15normal_iteratorINS9_10device_ptrIKiEEEESF_NSB_INSC_IiEEEEPS5_SI_SI_NS9_4lessIiEEEE10hipError_tPvRmT0_T1_T2_T3_T4_T5_mmT6_P12ihipStream_tbEUlT_E_NS1_11comp_targetILNS1_3genE2ELNS1_11target_archE906ELNS1_3gpuE6ELNS1_3repE0EEENS1_30default_config_static_selectorELNS0_4arch9wavefront6targetE0EEEvSP_
	.p2align	8
	.type	_ZN7rocprim17ROCPRIM_400000_NS6detail17trampoline_kernelINS0_14default_configENS1_21merge_config_selectorIiNS0_10empty_typeEEEZNS1_10merge_implIS3_N6thrust23THRUST_200600_302600_NS6detail15normal_iteratorINS9_10device_ptrIKiEEEESF_NSB_INSC_IiEEEEPS5_SI_SI_NS9_4lessIiEEEE10hipError_tPvRmT0_T1_T2_T3_T4_T5_mmT6_P12ihipStream_tbEUlT_E_NS1_11comp_targetILNS1_3genE2ELNS1_11target_archE906ELNS1_3gpuE6ELNS1_3repE0EEENS1_30default_config_static_selectorELNS0_4arch9wavefront6targetE0EEEvSP_,@function
_ZN7rocprim17ROCPRIM_400000_NS6detail17trampoline_kernelINS0_14default_configENS1_21merge_config_selectorIiNS0_10empty_typeEEEZNS1_10merge_implIS3_N6thrust23THRUST_200600_302600_NS6detail15normal_iteratorINS9_10device_ptrIKiEEEESF_NSB_INSC_IiEEEEPS5_SI_SI_NS9_4lessIiEEEE10hipError_tPvRmT0_T1_T2_T3_T4_T5_mmT6_P12ihipStream_tbEUlT_E_NS1_11comp_targetILNS1_3genE2ELNS1_11target_archE906ELNS1_3gpuE6ELNS1_3repE0EEENS1_30default_config_static_selectorELNS0_4arch9wavefront6targetE0EEEvSP_: ; @_ZN7rocprim17ROCPRIM_400000_NS6detail17trampoline_kernelINS0_14default_configENS1_21merge_config_selectorIiNS0_10empty_typeEEEZNS1_10merge_implIS3_N6thrust23THRUST_200600_302600_NS6detail15normal_iteratorINS9_10device_ptrIKiEEEESF_NSB_INSC_IiEEEEPS5_SI_SI_NS9_4lessIiEEEE10hipError_tPvRmT0_T1_T2_T3_T4_T5_mmT6_P12ihipStream_tbEUlT_E_NS1_11comp_targetILNS1_3genE2ELNS1_11target_archE906ELNS1_3gpuE6ELNS1_3repE0EEENS1_30default_config_static_selectorELNS0_4arch9wavefront6targetE0EEEvSP_
; %bb.0:
	.section	.rodata,"a",@progbits
	.p2align	6, 0x0
	.amdhsa_kernel _ZN7rocprim17ROCPRIM_400000_NS6detail17trampoline_kernelINS0_14default_configENS1_21merge_config_selectorIiNS0_10empty_typeEEEZNS1_10merge_implIS3_N6thrust23THRUST_200600_302600_NS6detail15normal_iteratorINS9_10device_ptrIKiEEEESF_NSB_INSC_IiEEEEPS5_SI_SI_NS9_4lessIiEEEE10hipError_tPvRmT0_T1_T2_T3_T4_T5_mmT6_P12ihipStream_tbEUlT_E_NS1_11comp_targetILNS1_3genE2ELNS1_11target_archE906ELNS1_3gpuE6ELNS1_3repE0EEENS1_30default_config_static_selectorELNS0_4arch9wavefront6targetE0EEEvSP_
		.amdhsa_group_segment_fixed_size 0
		.amdhsa_private_segment_fixed_size 0
		.amdhsa_kernarg_size 48
		.amdhsa_user_sgpr_count 6
		.amdhsa_user_sgpr_private_segment_buffer 1
		.amdhsa_user_sgpr_dispatch_ptr 0
		.amdhsa_user_sgpr_queue_ptr 0
		.amdhsa_user_sgpr_kernarg_segment_ptr 1
		.amdhsa_user_sgpr_dispatch_id 0
		.amdhsa_user_sgpr_flat_scratch_init 0
		.amdhsa_user_sgpr_private_segment_size 0
		.amdhsa_wavefront_size32 1
		.amdhsa_uses_dynamic_stack 0
		.amdhsa_system_sgpr_private_segment_wavefront_offset 0
		.amdhsa_system_sgpr_workgroup_id_x 1
		.amdhsa_system_sgpr_workgroup_id_y 0
		.amdhsa_system_sgpr_workgroup_id_z 0
		.amdhsa_system_sgpr_workgroup_info 0
		.amdhsa_system_vgpr_workitem_id 0
		.amdhsa_next_free_vgpr 1
		.amdhsa_next_free_sgpr 1
		.amdhsa_reserve_vcc 0
		.amdhsa_reserve_flat_scratch 0
		.amdhsa_float_round_mode_32 0
		.amdhsa_float_round_mode_16_64 0
		.amdhsa_float_denorm_mode_32 3
		.amdhsa_float_denorm_mode_16_64 3
		.amdhsa_dx10_clamp 1
		.amdhsa_ieee_mode 1
		.amdhsa_fp16_overflow 0
		.amdhsa_workgroup_processor_mode 1
		.amdhsa_memory_ordered 1
		.amdhsa_forward_progress 1
		.amdhsa_shared_vgpr_count 0
		.amdhsa_exception_fp_ieee_invalid_op 0
		.amdhsa_exception_fp_denorm_src 0
		.amdhsa_exception_fp_ieee_div_zero 0
		.amdhsa_exception_fp_ieee_overflow 0
		.amdhsa_exception_fp_ieee_underflow 0
		.amdhsa_exception_fp_ieee_inexact 0
		.amdhsa_exception_int_div_zero 0
	.end_amdhsa_kernel
	.section	.text._ZN7rocprim17ROCPRIM_400000_NS6detail17trampoline_kernelINS0_14default_configENS1_21merge_config_selectorIiNS0_10empty_typeEEEZNS1_10merge_implIS3_N6thrust23THRUST_200600_302600_NS6detail15normal_iteratorINS9_10device_ptrIKiEEEESF_NSB_INSC_IiEEEEPS5_SI_SI_NS9_4lessIiEEEE10hipError_tPvRmT0_T1_T2_T3_T4_T5_mmT6_P12ihipStream_tbEUlT_E_NS1_11comp_targetILNS1_3genE2ELNS1_11target_archE906ELNS1_3gpuE6ELNS1_3repE0EEENS1_30default_config_static_selectorELNS0_4arch9wavefront6targetE0EEEvSP_,"axG",@progbits,_ZN7rocprim17ROCPRIM_400000_NS6detail17trampoline_kernelINS0_14default_configENS1_21merge_config_selectorIiNS0_10empty_typeEEEZNS1_10merge_implIS3_N6thrust23THRUST_200600_302600_NS6detail15normal_iteratorINS9_10device_ptrIKiEEEESF_NSB_INSC_IiEEEEPS5_SI_SI_NS9_4lessIiEEEE10hipError_tPvRmT0_T1_T2_T3_T4_T5_mmT6_P12ihipStream_tbEUlT_E_NS1_11comp_targetILNS1_3genE2ELNS1_11target_archE906ELNS1_3gpuE6ELNS1_3repE0EEENS1_30default_config_static_selectorELNS0_4arch9wavefront6targetE0EEEvSP_,comdat
.Lfunc_end5:
	.size	_ZN7rocprim17ROCPRIM_400000_NS6detail17trampoline_kernelINS0_14default_configENS1_21merge_config_selectorIiNS0_10empty_typeEEEZNS1_10merge_implIS3_N6thrust23THRUST_200600_302600_NS6detail15normal_iteratorINS9_10device_ptrIKiEEEESF_NSB_INSC_IiEEEEPS5_SI_SI_NS9_4lessIiEEEE10hipError_tPvRmT0_T1_T2_T3_T4_T5_mmT6_P12ihipStream_tbEUlT_E_NS1_11comp_targetILNS1_3genE2ELNS1_11target_archE906ELNS1_3gpuE6ELNS1_3repE0EEENS1_30default_config_static_selectorELNS0_4arch9wavefront6targetE0EEEvSP_, .Lfunc_end5-_ZN7rocprim17ROCPRIM_400000_NS6detail17trampoline_kernelINS0_14default_configENS1_21merge_config_selectorIiNS0_10empty_typeEEEZNS1_10merge_implIS3_N6thrust23THRUST_200600_302600_NS6detail15normal_iteratorINS9_10device_ptrIKiEEEESF_NSB_INSC_IiEEEEPS5_SI_SI_NS9_4lessIiEEEE10hipError_tPvRmT0_T1_T2_T3_T4_T5_mmT6_P12ihipStream_tbEUlT_E_NS1_11comp_targetILNS1_3genE2ELNS1_11target_archE906ELNS1_3gpuE6ELNS1_3repE0EEENS1_30default_config_static_selectorELNS0_4arch9wavefront6targetE0EEEvSP_
                                        ; -- End function
	.set _ZN7rocprim17ROCPRIM_400000_NS6detail17trampoline_kernelINS0_14default_configENS1_21merge_config_selectorIiNS0_10empty_typeEEEZNS1_10merge_implIS3_N6thrust23THRUST_200600_302600_NS6detail15normal_iteratorINS9_10device_ptrIKiEEEESF_NSB_INSC_IiEEEEPS5_SI_SI_NS9_4lessIiEEEE10hipError_tPvRmT0_T1_T2_T3_T4_T5_mmT6_P12ihipStream_tbEUlT_E_NS1_11comp_targetILNS1_3genE2ELNS1_11target_archE906ELNS1_3gpuE6ELNS1_3repE0EEENS1_30default_config_static_selectorELNS0_4arch9wavefront6targetE0EEEvSP_.num_vgpr, 0
	.set _ZN7rocprim17ROCPRIM_400000_NS6detail17trampoline_kernelINS0_14default_configENS1_21merge_config_selectorIiNS0_10empty_typeEEEZNS1_10merge_implIS3_N6thrust23THRUST_200600_302600_NS6detail15normal_iteratorINS9_10device_ptrIKiEEEESF_NSB_INSC_IiEEEEPS5_SI_SI_NS9_4lessIiEEEE10hipError_tPvRmT0_T1_T2_T3_T4_T5_mmT6_P12ihipStream_tbEUlT_E_NS1_11comp_targetILNS1_3genE2ELNS1_11target_archE906ELNS1_3gpuE6ELNS1_3repE0EEENS1_30default_config_static_selectorELNS0_4arch9wavefront6targetE0EEEvSP_.num_agpr, 0
	.set _ZN7rocprim17ROCPRIM_400000_NS6detail17trampoline_kernelINS0_14default_configENS1_21merge_config_selectorIiNS0_10empty_typeEEEZNS1_10merge_implIS3_N6thrust23THRUST_200600_302600_NS6detail15normal_iteratorINS9_10device_ptrIKiEEEESF_NSB_INSC_IiEEEEPS5_SI_SI_NS9_4lessIiEEEE10hipError_tPvRmT0_T1_T2_T3_T4_T5_mmT6_P12ihipStream_tbEUlT_E_NS1_11comp_targetILNS1_3genE2ELNS1_11target_archE906ELNS1_3gpuE6ELNS1_3repE0EEENS1_30default_config_static_selectorELNS0_4arch9wavefront6targetE0EEEvSP_.numbered_sgpr, 0
	.set _ZN7rocprim17ROCPRIM_400000_NS6detail17trampoline_kernelINS0_14default_configENS1_21merge_config_selectorIiNS0_10empty_typeEEEZNS1_10merge_implIS3_N6thrust23THRUST_200600_302600_NS6detail15normal_iteratorINS9_10device_ptrIKiEEEESF_NSB_INSC_IiEEEEPS5_SI_SI_NS9_4lessIiEEEE10hipError_tPvRmT0_T1_T2_T3_T4_T5_mmT6_P12ihipStream_tbEUlT_E_NS1_11comp_targetILNS1_3genE2ELNS1_11target_archE906ELNS1_3gpuE6ELNS1_3repE0EEENS1_30default_config_static_selectorELNS0_4arch9wavefront6targetE0EEEvSP_.num_named_barrier, 0
	.set _ZN7rocprim17ROCPRIM_400000_NS6detail17trampoline_kernelINS0_14default_configENS1_21merge_config_selectorIiNS0_10empty_typeEEEZNS1_10merge_implIS3_N6thrust23THRUST_200600_302600_NS6detail15normal_iteratorINS9_10device_ptrIKiEEEESF_NSB_INSC_IiEEEEPS5_SI_SI_NS9_4lessIiEEEE10hipError_tPvRmT0_T1_T2_T3_T4_T5_mmT6_P12ihipStream_tbEUlT_E_NS1_11comp_targetILNS1_3genE2ELNS1_11target_archE906ELNS1_3gpuE6ELNS1_3repE0EEENS1_30default_config_static_selectorELNS0_4arch9wavefront6targetE0EEEvSP_.private_seg_size, 0
	.set _ZN7rocprim17ROCPRIM_400000_NS6detail17trampoline_kernelINS0_14default_configENS1_21merge_config_selectorIiNS0_10empty_typeEEEZNS1_10merge_implIS3_N6thrust23THRUST_200600_302600_NS6detail15normal_iteratorINS9_10device_ptrIKiEEEESF_NSB_INSC_IiEEEEPS5_SI_SI_NS9_4lessIiEEEE10hipError_tPvRmT0_T1_T2_T3_T4_T5_mmT6_P12ihipStream_tbEUlT_E_NS1_11comp_targetILNS1_3genE2ELNS1_11target_archE906ELNS1_3gpuE6ELNS1_3repE0EEENS1_30default_config_static_selectorELNS0_4arch9wavefront6targetE0EEEvSP_.uses_vcc, 0
	.set _ZN7rocprim17ROCPRIM_400000_NS6detail17trampoline_kernelINS0_14default_configENS1_21merge_config_selectorIiNS0_10empty_typeEEEZNS1_10merge_implIS3_N6thrust23THRUST_200600_302600_NS6detail15normal_iteratorINS9_10device_ptrIKiEEEESF_NSB_INSC_IiEEEEPS5_SI_SI_NS9_4lessIiEEEE10hipError_tPvRmT0_T1_T2_T3_T4_T5_mmT6_P12ihipStream_tbEUlT_E_NS1_11comp_targetILNS1_3genE2ELNS1_11target_archE906ELNS1_3gpuE6ELNS1_3repE0EEENS1_30default_config_static_selectorELNS0_4arch9wavefront6targetE0EEEvSP_.uses_flat_scratch, 0
	.set _ZN7rocprim17ROCPRIM_400000_NS6detail17trampoline_kernelINS0_14default_configENS1_21merge_config_selectorIiNS0_10empty_typeEEEZNS1_10merge_implIS3_N6thrust23THRUST_200600_302600_NS6detail15normal_iteratorINS9_10device_ptrIKiEEEESF_NSB_INSC_IiEEEEPS5_SI_SI_NS9_4lessIiEEEE10hipError_tPvRmT0_T1_T2_T3_T4_T5_mmT6_P12ihipStream_tbEUlT_E_NS1_11comp_targetILNS1_3genE2ELNS1_11target_archE906ELNS1_3gpuE6ELNS1_3repE0EEENS1_30default_config_static_selectorELNS0_4arch9wavefront6targetE0EEEvSP_.has_dyn_sized_stack, 0
	.set _ZN7rocprim17ROCPRIM_400000_NS6detail17trampoline_kernelINS0_14default_configENS1_21merge_config_selectorIiNS0_10empty_typeEEEZNS1_10merge_implIS3_N6thrust23THRUST_200600_302600_NS6detail15normal_iteratorINS9_10device_ptrIKiEEEESF_NSB_INSC_IiEEEEPS5_SI_SI_NS9_4lessIiEEEE10hipError_tPvRmT0_T1_T2_T3_T4_T5_mmT6_P12ihipStream_tbEUlT_E_NS1_11comp_targetILNS1_3genE2ELNS1_11target_archE906ELNS1_3gpuE6ELNS1_3repE0EEENS1_30default_config_static_selectorELNS0_4arch9wavefront6targetE0EEEvSP_.has_recursion, 0
	.set _ZN7rocprim17ROCPRIM_400000_NS6detail17trampoline_kernelINS0_14default_configENS1_21merge_config_selectorIiNS0_10empty_typeEEEZNS1_10merge_implIS3_N6thrust23THRUST_200600_302600_NS6detail15normal_iteratorINS9_10device_ptrIKiEEEESF_NSB_INSC_IiEEEEPS5_SI_SI_NS9_4lessIiEEEE10hipError_tPvRmT0_T1_T2_T3_T4_T5_mmT6_P12ihipStream_tbEUlT_E_NS1_11comp_targetILNS1_3genE2ELNS1_11target_archE906ELNS1_3gpuE6ELNS1_3repE0EEENS1_30default_config_static_selectorELNS0_4arch9wavefront6targetE0EEEvSP_.has_indirect_call, 0
	.section	.AMDGPU.csdata,"",@progbits
; Kernel info:
; codeLenInByte = 0
; TotalNumSgprs: 0
; NumVgprs: 0
; ScratchSize: 0
; MemoryBound: 0
; FloatMode: 240
; IeeeMode: 1
; LDSByteSize: 0 bytes/workgroup (compile time only)
; SGPRBlocks: 0
; VGPRBlocks: 0
; NumSGPRsForWavesPerEU: 1
; NumVGPRsForWavesPerEU: 1
; Occupancy: 16
; WaveLimiterHint : 0
; COMPUTE_PGM_RSRC2:SCRATCH_EN: 0
; COMPUTE_PGM_RSRC2:USER_SGPR: 6
; COMPUTE_PGM_RSRC2:TRAP_HANDLER: 0
; COMPUTE_PGM_RSRC2:TGID_X_EN: 1
; COMPUTE_PGM_RSRC2:TGID_Y_EN: 0
; COMPUTE_PGM_RSRC2:TGID_Z_EN: 0
; COMPUTE_PGM_RSRC2:TIDIG_COMP_CNT: 0
	.section	.text._ZN7rocprim17ROCPRIM_400000_NS6detail17trampoline_kernelINS0_14default_configENS1_21merge_config_selectorIiNS0_10empty_typeEEEZNS1_10merge_implIS3_N6thrust23THRUST_200600_302600_NS6detail15normal_iteratorINS9_10device_ptrIKiEEEESF_NSB_INSC_IiEEEEPS5_SI_SI_NS9_4lessIiEEEE10hipError_tPvRmT0_T1_T2_T3_T4_T5_mmT6_P12ihipStream_tbEUlT_E_NS1_11comp_targetILNS1_3genE10ELNS1_11target_archE1201ELNS1_3gpuE5ELNS1_3repE0EEENS1_30default_config_static_selectorELNS0_4arch9wavefront6targetE0EEEvSP_,"axG",@progbits,_ZN7rocprim17ROCPRIM_400000_NS6detail17trampoline_kernelINS0_14default_configENS1_21merge_config_selectorIiNS0_10empty_typeEEEZNS1_10merge_implIS3_N6thrust23THRUST_200600_302600_NS6detail15normal_iteratorINS9_10device_ptrIKiEEEESF_NSB_INSC_IiEEEEPS5_SI_SI_NS9_4lessIiEEEE10hipError_tPvRmT0_T1_T2_T3_T4_T5_mmT6_P12ihipStream_tbEUlT_E_NS1_11comp_targetILNS1_3genE10ELNS1_11target_archE1201ELNS1_3gpuE5ELNS1_3repE0EEENS1_30default_config_static_selectorELNS0_4arch9wavefront6targetE0EEEvSP_,comdat
	.protected	_ZN7rocprim17ROCPRIM_400000_NS6detail17trampoline_kernelINS0_14default_configENS1_21merge_config_selectorIiNS0_10empty_typeEEEZNS1_10merge_implIS3_N6thrust23THRUST_200600_302600_NS6detail15normal_iteratorINS9_10device_ptrIKiEEEESF_NSB_INSC_IiEEEEPS5_SI_SI_NS9_4lessIiEEEE10hipError_tPvRmT0_T1_T2_T3_T4_T5_mmT6_P12ihipStream_tbEUlT_E_NS1_11comp_targetILNS1_3genE10ELNS1_11target_archE1201ELNS1_3gpuE5ELNS1_3repE0EEENS1_30default_config_static_selectorELNS0_4arch9wavefront6targetE0EEEvSP_ ; -- Begin function _ZN7rocprim17ROCPRIM_400000_NS6detail17trampoline_kernelINS0_14default_configENS1_21merge_config_selectorIiNS0_10empty_typeEEEZNS1_10merge_implIS3_N6thrust23THRUST_200600_302600_NS6detail15normal_iteratorINS9_10device_ptrIKiEEEESF_NSB_INSC_IiEEEEPS5_SI_SI_NS9_4lessIiEEEE10hipError_tPvRmT0_T1_T2_T3_T4_T5_mmT6_P12ihipStream_tbEUlT_E_NS1_11comp_targetILNS1_3genE10ELNS1_11target_archE1201ELNS1_3gpuE5ELNS1_3repE0EEENS1_30default_config_static_selectorELNS0_4arch9wavefront6targetE0EEEvSP_
	.globl	_ZN7rocprim17ROCPRIM_400000_NS6detail17trampoline_kernelINS0_14default_configENS1_21merge_config_selectorIiNS0_10empty_typeEEEZNS1_10merge_implIS3_N6thrust23THRUST_200600_302600_NS6detail15normal_iteratorINS9_10device_ptrIKiEEEESF_NSB_INSC_IiEEEEPS5_SI_SI_NS9_4lessIiEEEE10hipError_tPvRmT0_T1_T2_T3_T4_T5_mmT6_P12ihipStream_tbEUlT_E_NS1_11comp_targetILNS1_3genE10ELNS1_11target_archE1201ELNS1_3gpuE5ELNS1_3repE0EEENS1_30default_config_static_selectorELNS0_4arch9wavefront6targetE0EEEvSP_
	.p2align	8
	.type	_ZN7rocprim17ROCPRIM_400000_NS6detail17trampoline_kernelINS0_14default_configENS1_21merge_config_selectorIiNS0_10empty_typeEEEZNS1_10merge_implIS3_N6thrust23THRUST_200600_302600_NS6detail15normal_iteratorINS9_10device_ptrIKiEEEESF_NSB_INSC_IiEEEEPS5_SI_SI_NS9_4lessIiEEEE10hipError_tPvRmT0_T1_T2_T3_T4_T5_mmT6_P12ihipStream_tbEUlT_E_NS1_11comp_targetILNS1_3genE10ELNS1_11target_archE1201ELNS1_3gpuE5ELNS1_3repE0EEENS1_30default_config_static_selectorELNS0_4arch9wavefront6targetE0EEEvSP_,@function
_ZN7rocprim17ROCPRIM_400000_NS6detail17trampoline_kernelINS0_14default_configENS1_21merge_config_selectorIiNS0_10empty_typeEEEZNS1_10merge_implIS3_N6thrust23THRUST_200600_302600_NS6detail15normal_iteratorINS9_10device_ptrIKiEEEESF_NSB_INSC_IiEEEEPS5_SI_SI_NS9_4lessIiEEEE10hipError_tPvRmT0_T1_T2_T3_T4_T5_mmT6_P12ihipStream_tbEUlT_E_NS1_11comp_targetILNS1_3genE10ELNS1_11target_archE1201ELNS1_3gpuE5ELNS1_3repE0EEENS1_30default_config_static_selectorELNS0_4arch9wavefront6targetE0EEEvSP_: ; @_ZN7rocprim17ROCPRIM_400000_NS6detail17trampoline_kernelINS0_14default_configENS1_21merge_config_selectorIiNS0_10empty_typeEEEZNS1_10merge_implIS3_N6thrust23THRUST_200600_302600_NS6detail15normal_iteratorINS9_10device_ptrIKiEEEESF_NSB_INSC_IiEEEEPS5_SI_SI_NS9_4lessIiEEEE10hipError_tPvRmT0_T1_T2_T3_T4_T5_mmT6_P12ihipStream_tbEUlT_E_NS1_11comp_targetILNS1_3genE10ELNS1_11target_archE1201ELNS1_3gpuE5ELNS1_3repE0EEENS1_30default_config_static_selectorELNS0_4arch9wavefront6targetE0EEEvSP_
; %bb.0:
	.section	.rodata,"a",@progbits
	.p2align	6, 0x0
	.amdhsa_kernel _ZN7rocprim17ROCPRIM_400000_NS6detail17trampoline_kernelINS0_14default_configENS1_21merge_config_selectorIiNS0_10empty_typeEEEZNS1_10merge_implIS3_N6thrust23THRUST_200600_302600_NS6detail15normal_iteratorINS9_10device_ptrIKiEEEESF_NSB_INSC_IiEEEEPS5_SI_SI_NS9_4lessIiEEEE10hipError_tPvRmT0_T1_T2_T3_T4_T5_mmT6_P12ihipStream_tbEUlT_E_NS1_11comp_targetILNS1_3genE10ELNS1_11target_archE1201ELNS1_3gpuE5ELNS1_3repE0EEENS1_30default_config_static_selectorELNS0_4arch9wavefront6targetE0EEEvSP_
		.amdhsa_group_segment_fixed_size 0
		.amdhsa_private_segment_fixed_size 0
		.amdhsa_kernarg_size 48
		.amdhsa_user_sgpr_count 6
		.amdhsa_user_sgpr_private_segment_buffer 1
		.amdhsa_user_sgpr_dispatch_ptr 0
		.amdhsa_user_sgpr_queue_ptr 0
		.amdhsa_user_sgpr_kernarg_segment_ptr 1
		.amdhsa_user_sgpr_dispatch_id 0
		.amdhsa_user_sgpr_flat_scratch_init 0
		.amdhsa_user_sgpr_private_segment_size 0
		.amdhsa_wavefront_size32 1
		.amdhsa_uses_dynamic_stack 0
		.amdhsa_system_sgpr_private_segment_wavefront_offset 0
		.amdhsa_system_sgpr_workgroup_id_x 1
		.amdhsa_system_sgpr_workgroup_id_y 0
		.amdhsa_system_sgpr_workgroup_id_z 0
		.amdhsa_system_sgpr_workgroup_info 0
		.amdhsa_system_vgpr_workitem_id 0
		.amdhsa_next_free_vgpr 1
		.amdhsa_next_free_sgpr 1
		.amdhsa_reserve_vcc 0
		.amdhsa_reserve_flat_scratch 0
		.amdhsa_float_round_mode_32 0
		.amdhsa_float_round_mode_16_64 0
		.amdhsa_float_denorm_mode_32 3
		.amdhsa_float_denorm_mode_16_64 3
		.amdhsa_dx10_clamp 1
		.amdhsa_ieee_mode 1
		.amdhsa_fp16_overflow 0
		.amdhsa_workgroup_processor_mode 1
		.amdhsa_memory_ordered 1
		.amdhsa_forward_progress 1
		.amdhsa_shared_vgpr_count 0
		.amdhsa_exception_fp_ieee_invalid_op 0
		.amdhsa_exception_fp_denorm_src 0
		.amdhsa_exception_fp_ieee_div_zero 0
		.amdhsa_exception_fp_ieee_overflow 0
		.amdhsa_exception_fp_ieee_underflow 0
		.amdhsa_exception_fp_ieee_inexact 0
		.amdhsa_exception_int_div_zero 0
	.end_amdhsa_kernel
	.section	.text._ZN7rocprim17ROCPRIM_400000_NS6detail17trampoline_kernelINS0_14default_configENS1_21merge_config_selectorIiNS0_10empty_typeEEEZNS1_10merge_implIS3_N6thrust23THRUST_200600_302600_NS6detail15normal_iteratorINS9_10device_ptrIKiEEEESF_NSB_INSC_IiEEEEPS5_SI_SI_NS9_4lessIiEEEE10hipError_tPvRmT0_T1_T2_T3_T4_T5_mmT6_P12ihipStream_tbEUlT_E_NS1_11comp_targetILNS1_3genE10ELNS1_11target_archE1201ELNS1_3gpuE5ELNS1_3repE0EEENS1_30default_config_static_selectorELNS0_4arch9wavefront6targetE0EEEvSP_,"axG",@progbits,_ZN7rocprim17ROCPRIM_400000_NS6detail17trampoline_kernelINS0_14default_configENS1_21merge_config_selectorIiNS0_10empty_typeEEEZNS1_10merge_implIS3_N6thrust23THRUST_200600_302600_NS6detail15normal_iteratorINS9_10device_ptrIKiEEEESF_NSB_INSC_IiEEEEPS5_SI_SI_NS9_4lessIiEEEE10hipError_tPvRmT0_T1_T2_T3_T4_T5_mmT6_P12ihipStream_tbEUlT_E_NS1_11comp_targetILNS1_3genE10ELNS1_11target_archE1201ELNS1_3gpuE5ELNS1_3repE0EEENS1_30default_config_static_selectorELNS0_4arch9wavefront6targetE0EEEvSP_,comdat
.Lfunc_end6:
	.size	_ZN7rocprim17ROCPRIM_400000_NS6detail17trampoline_kernelINS0_14default_configENS1_21merge_config_selectorIiNS0_10empty_typeEEEZNS1_10merge_implIS3_N6thrust23THRUST_200600_302600_NS6detail15normal_iteratorINS9_10device_ptrIKiEEEESF_NSB_INSC_IiEEEEPS5_SI_SI_NS9_4lessIiEEEE10hipError_tPvRmT0_T1_T2_T3_T4_T5_mmT6_P12ihipStream_tbEUlT_E_NS1_11comp_targetILNS1_3genE10ELNS1_11target_archE1201ELNS1_3gpuE5ELNS1_3repE0EEENS1_30default_config_static_selectorELNS0_4arch9wavefront6targetE0EEEvSP_, .Lfunc_end6-_ZN7rocprim17ROCPRIM_400000_NS6detail17trampoline_kernelINS0_14default_configENS1_21merge_config_selectorIiNS0_10empty_typeEEEZNS1_10merge_implIS3_N6thrust23THRUST_200600_302600_NS6detail15normal_iteratorINS9_10device_ptrIKiEEEESF_NSB_INSC_IiEEEEPS5_SI_SI_NS9_4lessIiEEEE10hipError_tPvRmT0_T1_T2_T3_T4_T5_mmT6_P12ihipStream_tbEUlT_E_NS1_11comp_targetILNS1_3genE10ELNS1_11target_archE1201ELNS1_3gpuE5ELNS1_3repE0EEENS1_30default_config_static_selectorELNS0_4arch9wavefront6targetE0EEEvSP_
                                        ; -- End function
	.set _ZN7rocprim17ROCPRIM_400000_NS6detail17trampoline_kernelINS0_14default_configENS1_21merge_config_selectorIiNS0_10empty_typeEEEZNS1_10merge_implIS3_N6thrust23THRUST_200600_302600_NS6detail15normal_iteratorINS9_10device_ptrIKiEEEESF_NSB_INSC_IiEEEEPS5_SI_SI_NS9_4lessIiEEEE10hipError_tPvRmT0_T1_T2_T3_T4_T5_mmT6_P12ihipStream_tbEUlT_E_NS1_11comp_targetILNS1_3genE10ELNS1_11target_archE1201ELNS1_3gpuE5ELNS1_3repE0EEENS1_30default_config_static_selectorELNS0_4arch9wavefront6targetE0EEEvSP_.num_vgpr, 0
	.set _ZN7rocprim17ROCPRIM_400000_NS6detail17trampoline_kernelINS0_14default_configENS1_21merge_config_selectorIiNS0_10empty_typeEEEZNS1_10merge_implIS3_N6thrust23THRUST_200600_302600_NS6detail15normal_iteratorINS9_10device_ptrIKiEEEESF_NSB_INSC_IiEEEEPS5_SI_SI_NS9_4lessIiEEEE10hipError_tPvRmT0_T1_T2_T3_T4_T5_mmT6_P12ihipStream_tbEUlT_E_NS1_11comp_targetILNS1_3genE10ELNS1_11target_archE1201ELNS1_3gpuE5ELNS1_3repE0EEENS1_30default_config_static_selectorELNS0_4arch9wavefront6targetE0EEEvSP_.num_agpr, 0
	.set _ZN7rocprim17ROCPRIM_400000_NS6detail17trampoline_kernelINS0_14default_configENS1_21merge_config_selectorIiNS0_10empty_typeEEEZNS1_10merge_implIS3_N6thrust23THRUST_200600_302600_NS6detail15normal_iteratorINS9_10device_ptrIKiEEEESF_NSB_INSC_IiEEEEPS5_SI_SI_NS9_4lessIiEEEE10hipError_tPvRmT0_T1_T2_T3_T4_T5_mmT6_P12ihipStream_tbEUlT_E_NS1_11comp_targetILNS1_3genE10ELNS1_11target_archE1201ELNS1_3gpuE5ELNS1_3repE0EEENS1_30default_config_static_selectorELNS0_4arch9wavefront6targetE0EEEvSP_.numbered_sgpr, 0
	.set _ZN7rocprim17ROCPRIM_400000_NS6detail17trampoline_kernelINS0_14default_configENS1_21merge_config_selectorIiNS0_10empty_typeEEEZNS1_10merge_implIS3_N6thrust23THRUST_200600_302600_NS6detail15normal_iteratorINS9_10device_ptrIKiEEEESF_NSB_INSC_IiEEEEPS5_SI_SI_NS9_4lessIiEEEE10hipError_tPvRmT0_T1_T2_T3_T4_T5_mmT6_P12ihipStream_tbEUlT_E_NS1_11comp_targetILNS1_3genE10ELNS1_11target_archE1201ELNS1_3gpuE5ELNS1_3repE0EEENS1_30default_config_static_selectorELNS0_4arch9wavefront6targetE0EEEvSP_.num_named_barrier, 0
	.set _ZN7rocprim17ROCPRIM_400000_NS6detail17trampoline_kernelINS0_14default_configENS1_21merge_config_selectorIiNS0_10empty_typeEEEZNS1_10merge_implIS3_N6thrust23THRUST_200600_302600_NS6detail15normal_iteratorINS9_10device_ptrIKiEEEESF_NSB_INSC_IiEEEEPS5_SI_SI_NS9_4lessIiEEEE10hipError_tPvRmT0_T1_T2_T3_T4_T5_mmT6_P12ihipStream_tbEUlT_E_NS1_11comp_targetILNS1_3genE10ELNS1_11target_archE1201ELNS1_3gpuE5ELNS1_3repE0EEENS1_30default_config_static_selectorELNS0_4arch9wavefront6targetE0EEEvSP_.private_seg_size, 0
	.set _ZN7rocprim17ROCPRIM_400000_NS6detail17trampoline_kernelINS0_14default_configENS1_21merge_config_selectorIiNS0_10empty_typeEEEZNS1_10merge_implIS3_N6thrust23THRUST_200600_302600_NS6detail15normal_iteratorINS9_10device_ptrIKiEEEESF_NSB_INSC_IiEEEEPS5_SI_SI_NS9_4lessIiEEEE10hipError_tPvRmT0_T1_T2_T3_T4_T5_mmT6_P12ihipStream_tbEUlT_E_NS1_11comp_targetILNS1_3genE10ELNS1_11target_archE1201ELNS1_3gpuE5ELNS1_3repE0EEENS1_30default_config_static_selectorELNS0_4arch9wavefront6targetE0EEEvSP_.uses_vcc, 0
	.set _ZN7rocprim17ROCPRIM_400000_NS6detail17trampoline_kernelINS0_14default_configENS1_21merge_config_selectorIiNS0_10empty_typeEEEZNS1_10merge_implIS3_N6thrust23THRUST_200600_302600_NS6detail15normal_iteratorINS9_10device_ptrIKiEEEESF_NSB_INSC_IiEEEEPS5_SI_SI_NS9_4lessIiEEEE10hipError_tPvRmT0_T1_T2_T3_T4_T5_mmT6_P12ihipStream_tbEUlT_E_NS1_11comp_targetILNS1_3genE10ELNS1_11target_archE1201ELNS1_3gpuE5ELNS1_3repE0EEENS1_30default_config_static_selectorELNS0_4arch9wavefront6targetE0EEEvSP_.uses_flat_scratch, 0
	.set _ZN7rocprim17ROCPRIM_400000_NS6detail17trampoline_kernelINS0_14default_configENS1_21merge_config_selectorIiNS0_10empty_typeEEEZNS1_10merge_implIS3_N6thrust23THRUST_200600_302600_NS6detail15normal_iteratorINS9_10device_ptrIKiEEEESF_NSB_INSC_IiEEEEPS5_SI_SI_NS9_4lessIiEEEE10hipError_tPvRmT0_T1_T2_T3_T4_T5_mmT6_P12ihipStream_tbEUlT_E_NS1_11comp_targetILNS1_3genE10ELNS1_11target_archE1201ELNS1_3gpuE5ELNS1_3repE0EEENS1_30default_config_static_selectorELNS0_4arch9wavefront6targetE0EEEvSP_.has_dyn_sized_stack, 0
	.set _ZN7rocprim17ROCPRIM_400000_NS6detail17trampoline_kernelINS0_14default_configENS1_21merge_config_selectorIiNS0_10empty_typeEEEZNS1_10merge_implIS3_N6thrust23THRUST_200600_302600_NS6detail15normal_iteratorINS9_10device_ptrIKiEEEESF_NSB_INSC_IiEEEEPS5_SI_SI_NS9_4lessIiEEEE10hipError_tPvRmT0_T1_T2_T3_T4_T5_mmT6_P12ihipStream_tbEUlT_E_NS1_11comp_targetILNS1_3genE10ELNS1_11target_archE1201ELNS1_3gpuE5ELNS1_3repE0EEENS1_30default_config_static_selectorELNS0_4arch9wavefront6targetE0EEEvSP_.has_recursion, 0
	.set _ZN7rocprim17ROCPRIM_400000_NS6detail17trampoline_kernelINS0_14default_configENS1_21merge_config_selectorIiNS0_10empty_typeEEEZNS1_10merge_implIS3_N6thrust23THRUST_200600_302600_NS6detail15normal_iteratorINS9_10device_ptrIKiEEEESF_NSB_INSC_IiEEEEPS5_SI_SI_NS9_4lessIiEEEE10hipError_tPvRmT0_T1_T2_T3_T4_T5_mmT6_P12ihipStream_tbEUlT_E_NS1_11comp_targetILNS1_3genE10ELNS1_11target_archE1201ELNS1_3gpuE5ELNS1_3repE0EEENS1_30default_config_static_selectorELNS0_4arch9wavefront6targetE0EEEvSP_.has_indirect_call, 0
	.section	.AMDGPU.csdata,"",@progbits
; Kernel info:
; codeLenInByte = 0
; TotalNumSgprs: 0
; NumVgprs: 0
; ScratchSize: 0
; MemoryBound: 0
; FloatMode: 240
; IeeeMode: 1
; LDSByteSize: 0 bytes/workgroup (compile time only)
; SGPRBlocks: 0
; VGPRBlocks: 0
; NumSGPRsForWavesPerEU: 1
; NumVGPRsForWavesPerEU: 1
; Occupancy: 16
; WaveLimiterHint : 0
; COMPUTE_PGM_RSRC2:SCRATCH_EN: 0
; COMPUTE_PGM_RSRC2:USER_SGPR: 6
; COMPUTE_PGM_RSRC2:TRAP_HANDLER: 0
; COMPUTE_PGM_RSRC2:TGID_X_EN: 1
; COMPUTE_PGM_RSRC2:TGID_Y_EN: 0
; COMPUTE_PGM_RSRC2:TGID_Z_EN: 0
; COMPUTE_PGM_RSRC2:TIDIG_COMP_CNT: 0
	.section	.text._ZN7rocprim17ROCPRIM_400000_NS6detail17trampoline_kernelINS0_14default_configENS1_21merge_config_selectorIiNS0_10empty_typeEEEZNS1_10merge_implIS3_N6thrust23THRUST_200600_302600_NS6detail15normal_iteratorINS9_10device_ptrIKiEEEESF_NSB_INSC_IiEEEEPS5_SI_SI_NS9_4lessIiEEEE10hipError_tPvRmT0_T1_T2_T3_T4_T5_mmT6_P12ihipStream_tbEUlT_E_NS1_11comp_targetILNS1_3genE10ELNS1_11target_archE1200ELNS1_3gpuE4ELNS1_3repE0EEENS1_30default_config_static_selectorELNS0_4arch9wavefront6targetE0EEEvSP_,"axG",@progbits,_ZN7rocprim17ROCPRIM_400000_NS6detail17trampoline_kernelINS0_14default_configENS1_21merge_config_selectorIiNS0_10empty_typeEEEZNS1_10merge_implIS3_N6thrust23THRUST_200600_302600_NS6detail15normal_iteratorINS9_10device_ptrIKiEEEESF_NSB_INSC_IiEEEEPS5_SI_SI_NS9_4lessIiEEEE10hipError_tPvRmT0_T1_T2_T3_T4_T5_mmT6_P12ihipStream_tbEUlT_E_NS1_11comp_targetILNS1_3genE10ELNS1_11target_archE1200ELNS1_3gpuE4ELNS1_3repE0EEENS1_30default_config_static_selectorELNS0_4arch9wavefront6targetE0EEEvSP_,comdat
	.protected	_ZN7rocprim17ROCPRIM_400000_NS6detail17trampoline_kernelINS0_14default_configENS1_21merge_config_selectorIiNS0_10empty_typeEEEZNS1_10merge_implIS3_N6thrust23THRUST_200600_302600_NS6detail15normal_iteratorINS9_10device_ptrIKiEEEESF_NSB_INSC_IiEEEEPS5_SI_SI_NS9_4lessIiEEEE10hipError_tPvRmT0_T1_T2_T3_T4_T5_mmT6_P12ihipStream_tbEUlT_E_NS1_11comp_targetILNS1_3genE10ELNS1_11target_archE1200ELNS1_3gpuE4ELNS1_3repE0EEENS1_30default_config_static_selectorELNS0_4arch9wavefront6targetE0EEEvSP_ ; -- Begin function _ZN7rocprim17ROCPRIM_400000_NS6detail17trampoline_kernelINS0_14default_configENS1_21merge_config_selectorIiNS0_10empty_typeEEEZNS1_10merge_implIS3_N6thrust23THRUST_200600_302600_NS6detail15normal_iteratorINS9_10device_ptrIKiEEEESF_NSB_INSC_IiEEEEPS5_SI_SI_NS9_4lessIiEEEE10hipError_tPvRmT0_T1_T2_T3_T4_T5_mmT6_P12ihipStream_tbEUlT_E_NS1_11comp_targetILNS1_3genE10ELNS1_11target_archE1200ELNS1_3gpuE4ELNS1_3repE0EEENS1_30default_config_static_selectorELNS0_4arch9wavefront6targetE0EEEvSP_
	.globl	_ZN7rocprim17ROCPRIM_400000_NS6detail17trampoline_kernelINS0_14default_configENS1_21merge_config_selectorIiNS0_10empty_typeEEEZNS1_10merge_implIS3_N6thrust23THRUST_200600_302600_NS6detail15normal_iteratorINS9_10device_ptrIKiEEEESF_NSB_INSC_IiEEEEPS5_SI_SI_NS9_4lessIiEEEE10hipError_tPvRmT0_T1_T2_T3_T4_T5_mmT6_P12ihipStream_tbEUlT_E_NS1_11comp_targetILNS1_3genE10ELNS1_11target_archE1200ELNS1_3gpuE4ELNS1_3repE0EEENS1_30default_config_static_selectorELNS0_4arch9wavefront6targetE0EEEvSP_
	.p2align	8
	.type	_ZN7rocprim17ROCPRIM_400000_NS6detail17trampoline_kernelINS0_14default_configENS1_21merge_config_selectorIiNS0_10empty_typeEEEZNS1_10merge_implIS3_N6thrust23THRUST_200600_302600_NS6detail15normal_iteratorINS9_10device_ptrIKiEEEESF_NSB_INSC_IiEEEEPS5_SI_SI_NS9_4lessIiEEEE10hipError_tPvRmT0_T1_T2_T3_T4_T5_mmT6_P12ihipStream_tbEUlT_E_NS1_11comp_targetILNS1_3genE10ELNS1_11target_archE1200ELNS1_3gpuE4ELNS1_3repE0EEENS1_30default_config_static_selectorELNS0_4arch9wavefront6targetE0EEEvSP_,@function
_ZN7rocprim17ROCPRIM_400000_NS6detail17trampoline_kernelINS0_14default_configENS1_21merge_config_selectorIiNS0_10empty_typeEEEZNS1_10merge_implIS3_N6thrust23THRUST_200600_302600_NS6detail15normal_iteratorINS9_10device_ptrIKiEEEESF_NSB_INSC_IiEEEEPS5_SI_SI_NS9_4lessIiEEEE10hipError_tPvRmT0_T1_T2_T3_T4_T5_mmT6_P12ihipStream_tbEUlT_E_NS1_11comp_targetILNS1_3genE10ELNS1_11target_archE1200ELNS1_3gpuE4ELNS1_3repE0EEENS1_30default_config_static_selectorELNS0_4arch9wavefront6targetE0EEEvSP_: ; @_ZN7rocprim17ROCPRIM_400000_NS6detail17trampoline_kernelINS0_14default_configENS1_21merge_config_selectorIiNS0_10empty_typeEEEZNS1_10merge_implIS3_N6thrust23THRUST_200600_302600_NS6detail15normal_iteratorINS9_10device_ptrIKiEEEESF_NSB_INSC_IiEEEEPS5_SI_SI_NS9_4lessIiEEEE10hipError_tPvRmT0_T1_T2_T3_T4_T5_mmT6_P12ihipStream_tbEUlT_E_NS1_11comp_targetILNS1_3genE10ELNS1_11target_archE1200ELNS1_3gpuE4ELNS1_3repE0EEENS1_30default_config_static_selectorELNS0_4arch9wavefront6targetE0EEEvSP_
; %bb.0:
	.section	.rodata,"a",@progbits
	.p2align	6, 0x0
	.amdhsa_kernel _ZN7rocprim17ROCPRIM_400000_NS6detail17trampoline_kernelINS0_14default_configENS1_21merge_config_selectorIiNS0_10empty_typeEEEZNS1_10merge_implIS3_N6thrust23THRUST_200600_302600_NS6detail15normal_iteratorINS9_10device_ptrIKiEEEESF_NSB_INSC_IiEEEEPS5_SI_SI_NS9_4lessIiEEEE10hipError_tPvRmT0_T1_T2_T3_T4_T5_mmT6_P12ihipStream_tbEUlT_E_NS1_11comp_targetILNS1_3genE10ELNS1_11target_archE1200ELNS1_3gpuE4ELNS1_3repE0EEENS1_30default_config_static_selectorELNS0_4arch9wavefront6targetE0EEEvSP_
		.amdhsa_group_segment_fixed_size 0
		.amdhsa_private_segment_fixed_size 0
		.amdhsa_kernarg_size 48
		.amdhsa_user_sgpr_count 6
		.amdhsa_user_sgpr_private_segment_buffer 1
		.amdhsa_user_sgpr_dispatch_ptr 0
		.amdhsa_user_sgpr_queue_ptr 0
		.amdhsa_user_sgpr_kernarg_segment_ptr 1
		.amdhsa_user_sgpr_dispatch_id 0
		.amdhsa_user_sgpr_flat_scratch_init 0
		.amdhsa_user_sgpr_private_segment_size 0
		.amdhsa_wavefront_size32 1
		.amdhsa_uses_dynamic_stack 0
		.amdhsa_system_sgpr_private_segment_wavefront_offset 0
		.amdhsa_system_sgpr_workgroup_id_x 1
		.amdhsa_system_sgpr_workgroup_id_y 0
		.amdhsa_system_sgpr_workgroup_id_z 0
		.amdhsa_system_sgpr_workgroup_info 0
		.amdhsa_system_vgpr_workitem_id 0
		.amdhsa_next_free_vgpr 1
		.amdhsa_next_free_sgpr 1
		.amdhsa_reserve_vcc 0
		.amdhsa_reserve_flat_scratch 0
		.amdhsa_float_round_mode_32 0
		.amdhsa_float_round_mode_16_64 0
		.amdhsa_float_denorm_mode_32 3
		.amdhsa_float_denorm_mode_16_64 3
		.amdhsa_dx10_clamp 1
		.amdhsa_ieee_mode 1
		.amdhsa_fp16_overflow 0
		.amdhsa_workgroup_processor_mode 1
		.amdhsa_memory_ordered 1
		.amdhsa_forward_progress 1
		.amdhsa_shared_vgpr_count 0
		.amdhsa_exception_fp_ieee_invalid_op 0
		.amdhsa_exception_fp_denorm_src 0
		.amdhsa_exception_fp_ieee_div_zero 0
		.amdhsa_exception_fp_ieee_overflow 0
		.amdhsa_exception_fp_ieee_underflow 0
		.amdhsa_exception_fp_ieee_inexact 0
		.amdhsa_exception_int_div_zero 0
	.end_amdhsa_kernel
	.section	.text._ZN7rocprim17ROCPRIM_400000_NS6detail17trampoline_kernelINS0_14default_configENS1_21merge_config_selectorIiNS0_10empty_typeEEEZNS1_10merge_implIS3_N6thrust23THRUST_200600_302600_NS6detail15normal_iteratorINS9_10device_ptrIKiEEEESF_NSB_INSC_IiEEEEPS5_SI_SI_NS9_4lessIiEEEE10hipError_tPvRmT0_T1_T2_T3_T4_T5_mmT6_P12ihipStream_tbEUlT_E_NS1_11comp_targetILNS1_3genE10ELNS1_11target_archE1200ELNS1_3gpuE4ELNS1_3repE0EEENS1_30default_config_static_selectorELNS0_4arch9wavefront6targetE0EEEvSP_,"axG",@progbits,_ZN7rocprim17ROCPRIM_400000_NS6detail17trampoline_kernelINS0_14default_configENS1_21merge_config_selectorIiNS0_10empty_typeEEEZNS1_10merge_implIS3_N6thrust23THRUST_200600_302600_NS6detail15normal_iteratorINS9_10device_ptrIKiEEEESF_NSB_INSC_IiEEEEPS5_SI_SI_NS9_4lessIiEEEE10hipError_tPvRmT0_T1_T2_T3_T4_T5_mmT6_P12ihipStream_tbEUlT_E_NS1_11comp_targetILNS1_3genE10ELNS1_11target_archE1200ELNS1_3gpuE4ELNS1_3repE0EEENS1_30default_config_static_selectorELNS0_4arch9wavefront6targetE0EEEvSP_,comdat
.Lfunc_end7:
	.size	_ZN7rocprim17ROCPRIM_400000_NS6detail17trampoline_kernelINS0_14default_configENS1_21merge_config_selectorIiNS0_10empty_typeEEEZNS1_10merge_implIS3_N6thrust23THRUST_200600_302600_NS6detail15normal_iteratorINS9_10device_ptrIKiEEEESF_NSB_INSC_IiEEEEPS5_SI_SI_NS9_4lessIiEEEE10hipError_tPvRmT0_T1_T2_T3_T4_T5_mmT6_P12ihipStream_tbEUlT_E_NS1_11comp_targetILNS1_3genE10ELNS1_11target_archE1200ELNS1_3gpuE4ELNS1_3repE0EEENS1_30default_config_static_selectorELNS0_4arch9wavefront6targetE0EEEvSP_, .Lfunc_end7-_ZN7rocprim17ROCPRIM_400000_NS6detail17trampoline_kernelINS0_14default_configENS1_21merge_config_selectorIiNS0_10empty_typeEEEZNS1_10merge_implIS3_N6thrust23THRUST_200600_302600_NS6detail15normal_iteratorINS9_10device_ptrIKiEEEESF_NSB_INSC_IiEEEEPS5_SI_SI_NS9_4lessIiEEEE10hipError_tPvRmT0_T1_T2_T3_T4_T5_mmT6_P12ihipStream_tbEUlT_E_NS1_11comp_targetILNS1_3genE10ELNS1_11target_archE1200ELNS1_3gpuE4ELNS1_3repE0EEENS1_30default_config_static_selectorELNS0_4arch9wavefront6targetE0EEEvSP_
                                        ; -- End function
	.set _ZN7rocprim17ROCPRIM_400000_NS6detail17trampoline_kernelINS0_14default_configENS1_21merge_config_selectorIiNS0_10empty_typeEEEZNS1_10merge_implIS3_N6thrust23THRUST_200600_302600_NS6detail15normal_iteratorINS9_10device_ptrIKiEEEESF_NSB_INSC_IiEEEEPS5_SI_SI_NS9_4lessIiEEEE10hipError_tPvRmT0_T1_T2_T3_T4_T5_mmT6_P12ihipStream_tbEUlT_E_NS1_11comp_targetILNS1_3genE10ELNS1_11target_archE1200ELNS1_3gpuE4ELNS1_3repE0EEENS1_30default_config_static_selectorELNS0_4arch9wavefront6targetE0EEEvSP_.num_vgpr, 0
	.set _ZN7rocprim17ROCPRIM_400000_NS6detail17trampoline_kernelINS0_14default_configENS1_21merge_config_selectorIiNS0_10empty_typeEEEZNS1_10merge_implIS3_N6thrust23THRUST_200600_302600_NS6detail15normal_iteratorINS9_10device_ptrIKiEEEESF_NSB_INSC_IiEEEEPS5_SI_SI_NS9_4lessIiEEEE10hipError_tPvRmT0_T1_T2_T3_T4_T5_mmT6_P12ihipStream_tbEUlT_E_NS1_11comp_targetILNS1_3genE10ELNS1_11target_archE1200ELNS1_3gpuE4ELNS1_3repE0EEENS1_30default_config_static_selectorELNS0_4arch9wavefront6targetE0EEEvSP_.num_agpr, 0
	.set _ZN7rocprim17ROCPRIM_400000_NS6detail17trampoline_kernelINS0_14default_configENS1_21merge_config_selectorIiNS0_10empty_typeEEEZNS1_10merge_implIS3_N6thrust23THRUST_200600_302600_NS6detail15normal_iteratorINS9_10device_ptrIKiEEEESF_NSB_INSC_IiEEEEPS5_SI_SI_NS9_4lessIiEEEE10hipError_tPvRmT0_T1_T2_T3_T4_T5_mmT6_P12ihipStream_tbEUlT_E_NS1_11comp_targetILNS1_3genE10ELNS1_11target_archE1200ELNS1_3gpuE4ELNS1_3repE0EEENS1_30default_config_static_selectorELNS0_4arch9wavefront6targetE0EEEvSP_.numbered_sgpr, 0
	.set _ZN7rocprim17ROCPRIM_400000_NS6detail17trampoline_kernelINS0_14default_configENS1_21merge_config_selectorIiNS0_10empty_typeEEEZNS1_10merge_implIS3_N6thrust23THRUST_200600_302600_NS6detail15normal_iteratorINS9_10device_ptrIKiEEEESF_NSB_INSC_IiEEEEPS5_SI_SI_NS9_4lessIiEEEE10hipError_tPvRmT0_T1_T2_T3_T4_T5_mmT6_P12ihipStream_tbEUlT_E_NS1_11comp_targetILNS1_3genE10ELNS1_11target_archE1200ELNS1_3gpuE4ELNS1_3repE0EEENS1_30default_config_static_selectorELNS0_4arch9wavefront6targetE0EEEvSP_.num_named_barrier, 0
	.set _ZN7rocprim17ROCPRIM_400000_NS6detail17trampoline_kernelINS0_14default_configENS1_21merge_config_selectorIiNS0_10empty_typeEEEZNS1_10merge_implIS3_N6thrust23THRUST_200600_302600_NS6detail15normal_iteratorINS9_10device_ptrIKiEEEESF_NSB_INSC_IiEEEEPS5_SI_SI_NS9_4lessIiEEEE10hipError_tPvRmT0_T1_T2_T3_T4_T5_mmT6_P12ihipStream_tbEUlT_E_NS1_11comp_targetILNS1_3genE10ELNS1_11target_archE1200ELNS1_3gpuE4ELNS1_3repE0EEENS1_30default_config_static_selectorELNS0_4arch9wavefront6targetE0EEEvSP_.private_seg_size, 0
	.set _ZN7rocprim17ROCPRIM_400000_NS6detail17trampoline_kernelINS0_14default_configENS1_21merge_config_selectorIiNS0_10empty_typeEEEZNS1_10merge_implIS3_N6thrust23THRUST_200600_302600_NS6detail15normal_iteratorINS9_10device_ptrIKiEEEESF_NSB_INSC_IiEEEEPS5_SI_SI_NS9_4lessIiEEEE10hipError_tPvRmT0_T1_T2_T3_T4_T5_mmT6_P12ihipStream_tbEUlT_E_NS1_11comp_targetILNS1_3genE10ELNS1_11target_archE1200ELNS1_3gpuE4ELNS1_3repE0EEENS1_30default_config_static_selectorELNS0_4arch9wavefront6targetE0EEEvSP_.uses_vcc, 0
	.set _ZN7rocprim17ROCPRIM_400000_NS6detail17trampoline_kernelINS0_14default_configENS1_21merge_config_selectorIiNS0_10empty_typeEEEZNS1_10merge_implIS3_N6thrust23THRUST_200600_302600_NS6detail15normal_iteratorINS9_10device_ptrIKiEEEESF_NSB_INSC_IiEEEEPS5_SI_SI_NS9_4lessIiEEEE10hipError_tPvRmT0_T1_T2_T3_T4_T5_mmT6_P12ihipStream_tbEUlT_E_NS1_11comp_targetILNS1_3genE10ELNS1_11target_archE1200ELNS1_3gpuE4ELNS1_3repE0EEENS1_30default_config_static_selectorELNS0_4arch9wavefront6targetE0EEEvSP_.uses_flat_scratch, 0
	.set _ZN7rocprim17ROCPRIM_400000_NS6detail17trampoline_kernelINS0_14default_configENS1_21merge_config_selectorIiNS0_10empty_typeEEEZNS1_10merge_implIS3_N6thrust23THRUST_200600_302600_NS6detail15normal_iteratorINS9_10device_ptrIKiEEEESF_NSB_INSC_IiEEEEPS5_SI_SI_NS9_4lessIiEEEE10hipError_tPvRmT0_T1_T2_T3_T4_T5_mmT6_P12ihipStream_tbEUlT_E_NS1_11comp_targetILNS1_3genE10ELNS1_11target_archE1200ELNS1_3gpuE4ELNS1_3repE0EEENS1_30default_config_static_selectorELNS0_4arch9wavefront6targetE0EEEvSP_.has_dyn_sized_stack, 0
	.set _ZN7rocprim17ROCPRIM_400000_NS6detail17trampoline_kernelINS0_14default_configENS1_21merge_config_selectorIiNS0_10empty_typeEEEZNS1_10merge_implIS3_N6thrust23THRUST_200600_302600_NS6detail15normal_iteratorINS9_10device_ptrIKiEEEESF_NSB_INSC_IiEEEEPS5_SI_SI_NS9_4lessIiEEEE10hipError_tPvRmT0_T1_T2_T3_T4_T5_mmT6_P12ihipStream_tbEUlT_E_NS1_11comp_targetILNS1_3genE10ELNS1_11target_archE1200ELNS1_3gpuE4ELNS1_3repE0EEENS1_30default_config_static_selectorELNS0_4arch9wavefront6targetE0EEEvSP_.has_recursion, 0
	.set _ZN7rocprim17ROCPRIM_400000_NS6detail17trampoline_kernelINS0_14default_configENS1_21merge_config_selectorIiNS0_10empty_typeEEEZNS1_10merge_implIS3_N6thrust23THRUST_200600_302600_NS6detail15normal_iteratorINS9_10device_ptrIKiEEEESF_NSB_INSC_IiEEEEPS5_SI_SI_NS9_4lessIiEEEE10hipError_tPvRmT0_T1_T2_T3_T4_T5_mmT6_P12ihipStream_tbEUlT_E_NS1_11comp_targetILNS1_3genE10ELNS1_11target_archE1200ELNS1_3gpuE4ELNS1_3repE0EEENS1_30default_config_static_selectorELNS0_4arch9wavefront6targetE0EEEvSP_.has_indirect_call, 0
	.section	.AMDGPU.csdata,"",@progbits
; Kernel info:
; codeLenInByte = 0
; TotalNumSgprs: 0
; NumVgprs: 0
; ScratchSize: 0
; MemoryBound: 0
; FloatMode: 240
; IeeeMode: 1
; LDSByteSize: 0 bytes/workgroup (compile time only)
; SGPRBlocks: 0
; VGPRBlocks: 0
; NumSGPRsForWavesPerEU: 1
; NumVGPRsForWavesPerEU: 1
; Occupancy: 16
; WaveLimiterHint : 0
; COMPUTE_PGM_RSRC2:SCRATCH_EN: 0
; COMPUTE_PGM_RSRC2:USER_SGPR: 6
; COMPUTE_PGM_RSRC2:TRAP_HANDLER: 0
; COMPUTE_PGM_RSRC2:TGID_X_EN: 1
; COMPUTE_PGM_RSRC2:TGID_Y_EN: 0
; COMPUTE_PGM_RSRC2:TGID_Z_EN: 0
; COMPUTE_PGM_RSRC2:TIDIG_COMP_CNT: 0
	.section	.text._ZN7rocprim17ROCPRIM_400000_NS6detail17trampoline_kernelINS0_14default_configENS1_21merge_config_selectorIiNS0_10empty_typeEEEZNS1_10merge_implIS3_N6thrust23THRUST_200600_302600_NS6detail15normal_iteratorINS9_10device_ptrIKiEEEESF_NSB_INSC_IiEEEEPS5_SI_SI_NS9_4lessIiEEEE10hipError_tPvRmT0_T1_T2_T3_T4_T5_mmT6_P12ihipStream_tbEUlT_E_NS1_11comp_targetILNS1_3genE9ELNS1_11target_archE1100ELNS1_3gpuE3ELNS1_3repE0EEENS1_30default_config_static_selectorELNS0_4arch9wavefront6targetE0EEEvSP_,"axG",@progbits,_ZN7rocprim17ROCPRIM_400000_NS6detail17trampoline_kernelINS0_14default_configENS1_21merge_config_selectorIiNS0_10empty_typeEEEZNS1_10merge_implIS3_N6thrust23THRUST_200600_302600_NS6detail15normal_iteratorINS9_10device_ptrIKiEEEESF_NSB_INSC_IiEEEEPS5_SI_SI_NS9_4lessIiEEEE10hipError_tPvRmT0_T1_T2_T3_T4_T5_mmT6_P12ihipStream_tbEUlT_E_NS1_11comp_targetILNS1_3genE9ELNS1_11target_archE1100ELNS1_3gpuE3ELNS1_3repE0EEENS1_30default_config_static_selectorELNS0_4arch9wavefront6targetE0EEEvSP_,comdat
	.protected	_ZN7rocprim17ROCPRIM_400000_NS6detail17trampoline_kernelINS0_14default_configENS1_21merge_config_selectorIiNS0_10empty_typeEEEZNS1_10merge_implIS3_N6thrust23THRUST_200600_302600_NS6detail15normal_iteratorINS9_10device_ptrIKiEEEESF_NSB_INSC_IiEEEEPS5_SI_SI_NS9_4lessIiEEEE10hipError_tPvRmT0_T1_T2_T3_T4_T5_mmT6_P12ihipStream_tbEUlT_E_NS1_11comp_targetILNS1_3genE9ELNS1_11target_archE1100ELNS1_3gpuE3ELNS1_3repE0EEENS1_30default_config_static_selectorELNS0_4arch9wavefront6targetE0EEEvSP_ ; -- Begin function _ZN7rocprim17ROCPRIM_400000_NS6detail17trampoline_kernelINS0_14default_configENS1_21merge_config_selectorIiNS0_10empty_typeEEEZNS1_10merge_implIS3_N6thrust23THRUST_200600_302600_NS6detail15normal_iteratorINS9_10device_ptrIKiEEEESF_NSB_INSC_IiEEEEPS5_SI_SI_NS9_4lessIiEEEE10hipError_tPvRmT0_T1_T2_T3_T4_T5_mmT6_P12ihipStream_tbEUlT_E_NS1_11comp_targetILNS1_3genE9ELNS1_11target_archE1100ELNS1_3gpuE3ELNS1_3repE0EEENS1_30default_config_static_selectorELNS0_4arch9wavefront6targetE0EEEvSP_
	.globl	_ZN7rocprim17ROCPRIM_400000_NS6detail17trampoline_kernelINS0_14default_configENS1_21merge_config_selectorIiNS0_10empty_typeEEEZNS1_10merge_implIS3_N6thrust23THRUST_200600_302600_NS6detail15normal_iteratorINS9_10device_ptrIKiEEEESF_NSB_INSC_IiEEEEPS5_SI_SI_NS9_4lessIiEEEE10hipError_tPvRmT0_T1_T2_T3_T4_T5_mmT6_P12ihipStream_tbEUlT_E_NS1_11comp_targetILNS1_3genE9ELNS1_11target_archE1100ELNS1_3gpuE3ELNS1_3repE0EEENS1_30default_config_static_selectorELNS0_4arch9wavefront6targetE0EEEvSP_
	.p2align	8
	.type	_ZN7rocprim17ROCPRIM_400000_NS6detail17trampoline_kernelINS0_14default_configENS1_21merge_config_selectorIiNS0_10empty_typeEEEZNS1_10merge_implIS3_N6thrust23THRUST_200600_302600_NS6detail15normal_iteratorINS9_10device_ptrIKiEEEESF_NSB_INSC_IiEEEEPS5_SI_SI_NS9_4lessIiEEEE10hipError_tPvRmT0_T1_T2_T3_T4_T5_mmT6_P12ihipStream_tbEUlT_E_NS1_11comp_targetILNS1_3genE9ELNS1_11target_archE1100ELNS1_3gpuE3ELNS1_3repE0EEENS1_30default_config_static_selectorELNS0_4arch9wavefront6targetE0EEEvSP_,@function
_ZN7rocprim17ROCPRIM_400000_NS6detail17trampoline_kernelINS0_14default_configENS1_21merge_config_selectorIiNS0_10empty_typeEEEZNS1_10merge_implIS3_N6thrust23THRUST_200600_302600_NS6detail15normal_iteratorINS9_10device_ptrIKiEEEESF_NSB_INSC_IiEEEEPS5_SI_SI_NS9_4lessIiEEEE10hipError_tPvRmT0_T1_T2_T3_T4_T5_mmT6_P12ihipStream_tbEUlT_E_NS1_11comp_targetILNS1_3genE9ELNS1_11target_archE1100ELNS1_3gpuE3ELNS1_3repE0EEENS1_30default_config_static_selectorELNS0_4arch9wavefront6targetE0EEEvSP_: ; @_ZN7rocprim17ROCPRIM_400000_NS6detail17trampoline_kernelINS0_14default_configENS1_21merge_config_selectorIiNS0_10empty_typeEEEZNS1_10merge_implIS3_N6thrust23THRUST_200600_302600_NS6detail15normal_iteratorINS9_10device_ptrIKiEEEESF_NSB_INSC_IiEEEEPS5_SI_SI_NS9_4lessIiEEEE10hipError_tPvRmT0_T1_T2_T3_T4_T5_mmT6_P12ihipStream_tbEUlT_E_NS1_11comp_targetILNS1_3genE9ELNS1_11target_archE1100ELNS1_3gpuE3ELNS1_3repE0EEENS1_30default_config_static_selectorELNS0_4arch9wavefront6targetE0EEEvSP_
; %bb.0:
	.section	.rodata,"a",@progbits
	.p2align	6, 0x0
	.amdhsa_kernel _ZN7rocprim17ROCPRIM_400000_NS6detail17trampoline_kernelINS0_14default_configENS1_21merge_config_selectorIiNS0_10empty_typeEEEZNS1_10merge_implIS3_N6thrust23THRUST_200600_302600_NS6detail15normal_iteratorINS9_10device_ptrIKiEEEESF_NSB_INSC_IiEEEEPS5_SI_SI_NS9_4lessIiEEEE10hipError_tPvRmT0_T1_T2_T3_T4_T5_mmT6_P12ihipStream_tbEUlT_E_NS1_11comp_targetILNS1_3genE9ELNS1_11target_archE1100ELNS1_3gpuE3ELNS1_3repE0EEENS1_30default_config_static_selectorELNS0_4arch9wavefront6targetE0EEEvSP_
		.amdhsa_group_segment_fixed_size 0
		.amdhsa_private_segment_fixed_size 0
		.amdhsa_kernarg_size 48
		.amdhsa_user_sgpr_count 6
		.amdhsa_user_sgpr_private_segment_buffer 1
		.amdhsa_user_sgpr_dispatch_ptr 0
		.amdhsa_user_sgpr_queue_ptr 0
		.amdhsa_user_sgpr_kernarg_segment_ptr 1
		.amdhsa_user_sgpr_dispatch_id 0
		.amdhsa_user_sgpr_flat_scratch_init 0
		.amdhsa_user_sgpr_private_segment_size 0
		.amdhsa_wavefront_size32 1
		.amdhsa_uses_dynamic_stack 0
		.amdhsa_system_sgpr_private_segment_wavefront_offset 0
		.amdhsa_system_sgpr_workgroup_id_x 1
		.amdhsa_system_sgpr_workgroup_id_y 0
		.amdhsa_system_sgpr_workgroup_id_z 0
		.amdhsa_system_sgpr_workgroup_info 0
		.amdhsa_system_vgpr_workitem_id 0
		.amdhsa_next_free_vgpr 1
		.amdhsa_next_free_sgpr 1
		.amdhsa_reserve_vcc 0
		.amdhsa_reserve_flat_scratch 0
		.amdhsa_float_round_mode_32 0
		.amdhsa_float_round_mode_16_64 0
		.amdhsa_float_denorm_mode_32 3
		.amdhsa_float_denorm_mode_16_64 3
		.amdhsa_dx10_clamp 1
		.amdhsa_ieee_mode 1
		.amdhsa_fp16_overflow 0
		.amdhsa_workgroup_processor_mode 1
		.amdhsa_memory_ordered 1
		.amdhsa_forward_progress 1
		.amdhsa_shared_vgpr_count 0
		.amdhsa_exception_fp_ieee_invalid_op 0
		.amdhsa_exception_fp_denorm_src 0
		.amdhsa_exception_fp_ieee_div_zero 0
		.amdhsa_exception_fp_ieee_overflow 0
		.amdhsa_exception_fp_ieee_underflow 0
		.amdhsa_exception_fp_ieee_inexact 0
		.amdhsa_exception_int_div_zero 0
	.end_amdhsa_kernel
	.section	.text._ZN7rocprim17ROCPRIM_400000_NS6detail17trampoline_kernelINS0_14default_configENS1_21merge_config_selectorIiNS0_10empty_typeEEEZNS1_10merge_implIS3_N6thrust23THRUST_200600_302600_NS6detail15normal_iteratorINS9_10device_ptrIKiEEEESF_NSB_INSC_IiEEEEPS5_SI_SI_NS9_4lessIiEEEE10hipError_tPvRmT0_T1_T2_T3_T4_T5_mmT6_P12ihipStream_tbEUlT_E_NS1_11comp_targetILNS1_3genE9ELNS1_11target_archE1100ELNS1_3gpuE3ELNS1_3repE0EEENS1_30default_config_static_selectorELNS0_4arch9wavefront6targetE0EEEvSP_,"axG",@progbits,_ZN7rocprim17ROCPRIM_400000_NS6detail17trampoline_kernelINS0_14default_configENS1_21merge_config_selectorIiNS0_10empty_typeEEEZNS1_10merge_implIS3_N6thrust23THRUST_200600_302600_NS6detail15normal_iteratorINS9_10device_ptrIKiEEEESF_NSB_INSC_IiEEEEPS5_SI_SI_NS9_4lessIiEEEE10hipError_tPvRmT0_T1_T2_T3_T4_T5_mmT6_P12ihipStream_tbEUlT_E_NS1_11comp_targetILNS1_3genE9ELNS1_11target_archE1100ELNS1_3gpuE3ELNS1_3repE0EEENS1_30default_config_static_selectorELNS0_4arch9wavefront6targetE0EEEvSP_,comdat
.Lfunc_end8:
	.size	_ZN7rocprim17ROCPRIM_400000_NS6detail17trampoline_kernelINS0_14default_configENS1_21merge_config_selectorIiNS0_10empty_typeEEEZNS1_10merge_implIS3_N6thrust23THRUST_200600_302600_NS6detail15normal_iteratorINS9_10device_ptrIKiEEEESF_NSB_INSC_IiEEEEPS5_SI_SI_NS9_4lessIiEEEE10hipError_tPvRmT0_T1_T2_T3_T4_T5_mmT6_P12ihipStream_tbEUlT_E_NS1_11comp_targetILNS1_3genE9ELNS1_11target_archE1100ELNS1_3gpuE3ELNS1_3repE0EEENS1_30default_config_static_selectorELNS0_4arch9wavefront6targetE0EEEvSP_, .Lfunc_end8-_ZN7rocprim17ROCPRIM_400000_NS6detail17trampoline_kernelINS0_14default_configENS1_21merge_config_selectorIiNS0_10empty_typeEEEZNS1_10merge_implIS3_N6thrust23THRUST_200600_302600_NS6detail15normal_iteratorINS9_10device_ptrIKiEEEESF_NSB_INSC_IiEEEEPS5_SI_SI_NS9_4lessIiEEEE10hipError_tPvRmT0_T1_T2_T3_T4_T5_mmT6_P12ihipStream_tbEUlT_E_NS1_11comp_targetILNS1_3genE9ELNS1_11target_archE1100ELNS1_3gpuE3ELNS1_3repE0EEENS1_30default_config_static_selectorELNS0_4arch9wavefront6targetE0EEEvSP_
                                        ; -- End function
	.set _ZN7rocprim17ROCPRIM_400000_NS6detail17trampoline_kernelINS0_14default_configENS1_21merge_config_selectorIiNS0_10empty_typeEEEZNS1_10merge_implIS3_N6thrust23THRUST_200600_302600_NS6detail15normal_iteratorINS9_10device_ptrIKiEEEESF_NSB_INSC_IiEEEEPS5_SI_SI_NS9_4lessIiEEEE10hipError_tPvRmT0_T1_T2_T3_T4_T5_mmT6_P12ihipStream_tbEUlT_E_NS1_11comp_targetILNS1_3genE9ELNS1_11target_archE1100ELNS1_3gpuE3ELNS1_3repE0EEENS1_30default_config_static_selectorELNS0_4arch9wavefront6targetE0EEEvSP_.num_vgpr, 0
	.set _ZN7rocprim17ROCPRIM_400000_NS6detail17trampoline_kernelINS0_14default_configENS1_21merge_config_selectorIiNS0_10empty_typeEEEZNS1_10merge_implIS3_N6thrust23THRUST_200600_302600_NS6detail15normal_iteratorINS9_10device_ptrIKiEEEESF_NSB_INSC_IiEEEEPS5_SI_SI_NS9_4lessIiEEEE10hipError_tPvRmT0_T1_T2_T3_T4_T5_mmT6_P12ihipStream_tbEUlT_E_NS1_11comp_targetILNS1_3genE9ELNS1_11target_archE1100ELNS1_3gpuE3ELNS1_3repE0EEENS1_30default_config_static_selectorELNS0_4arch9wavefront6targetE0EEEvSP_.num_agpr, 0
	.set _ZN7rocprim17ROCPRIM_400000_NS6detail17trampoline_kernelINS0_14default_configENS1_21merge_config_selectorIiNS0_10empty_typeEEEZNS1_10merge_implIS3_N6thrust23THRUST_200600_302600_NS6detail15normal_iteratorINS9_10device_ptrIKiEEEESF_NSB_INSC_IiEEEEPS5_SI_SI_NS9_4lessIiEEEE10hipError_tPvRmT0_T1_T2_T3_T4_T5_mmT6_P12ihipStream_tbEUlT_E_NS1_11comp_targetILNS1_3genE9ELNS1_11target_archE1100ELNS1_3gpuE3ELNS1_3repE0EEENS1_30default_config_static_selectorELNS0_4arch9wavefront6targetE0EEEvSP_.numbered_sgpr, 0
	.set _ZN7rocprim17ROCPRIM_400000_NS6detail17trampoline_kernelINS0_14default_configENS1_21merge_config_selectorIiNS0_10empty_typeEEEZNS1_10merge_implIS3_N6thrust23THRUST_200600_302600_NS6detail15normal_iteratorINS9_10device_ptrIKiEEEESF_NSB_INSC_IiEEEEPS5_SI_SI_NS9_4lessIiEEEE10hipError_tPvRmT0_T1_T2_T3_T4_T5_mmT6_P12ihipStream_tbEUlT_E_NS1_11comp_targetILNS1_3genE9ELNS1_11target_archE1100ELNS1_3gpuE3ELNS1_3repE0EEENS1_30default_config_static_selectorELNS0_4arch9wavefront6targetE0EEEvSP_.num_named_barrier, 0
	.set _ZN7rocprim17ROCPRIM_400000_NS6detail17trampoline_kernelINS0_14default_configENS1_21merge_config_selectorIiNS0_10empty_typeEEEZNS1_10merge_implIS3_N6thrust23THRUST_200600_302600_NS6detail15normal_iteratorINS9_10device_ptrIKiEEEESF_NSB_INSC_IiEEEEPS5_SI_SI_NS9_4lessIiEEEE10hipError_tPvRmT0_T1_T2_T3_T4_T5_mmT6_P12ihipStream_tbEUlT_E_NS1_11comp_targetILNS1_3genE9ELNS1_11target_archE1100ELNS1_3gpuE3ELNS1_3repE0EEENS1_30default_config_static_selectorELNS0_4arch9wavefront6targetE0EEEvSP_.private_seg_size, 0
	.set _ZN7rocprim17ROCPRIM_400000_NS6detail17trampoline_kernelINS0_14default_configENS1_21merge_config_selectorIiNS0_10empty_typeEEEZNS1_10merge_implIS3_N6thrust23THRUST_200600_302600_NS6detail15normal_iteratorINS9_10device_ptrIKiEEEESF_NSB_INSC_IiEEEEPS5_SI_SI_NS9_4lessIiEEEE10hipError_tPvRmT0_T1_T2_T3_T4_T5_mmT6_P12ihipStream_tbEUlT_E_NS1_11comp_targetILNS1_3genE9ELNS1_11target_archE1100ELNS1_3gpuE3ELNS1_3repE0EEENS1_30default_config_static_selectorELNS0_4arch9wavefront6targetE0EEEvSP_.uses_vcc, 0
	.set _ZN7rocprim17ROCPRIM_400000_NS6detail17trampoline_kernelINS0_14default_configENS1_21merge_config_selectorIiNS0_10empty_typeEEEZNS1_10merge_implIS3_N6thrust23THRUST_200600_302600_NS6detail15normal_iteratorINS9_10device_ptrIKiEEEESF_NSB_INSC_IiEEEEPS5_SI_SI_NS9_4lessIiEEEE10hipError_tPvRmT0_T1_T2_T3_T4_T5_mmT6_P12ihipStream_tbEUlT_E_NS1_11comp_targetILNS1_3genE9ELNS1_11target_archE1100ELNS1_3gpuE3ELNS1_3repE0EEENS1_30default_config_static_selectorELNS0_4arch9wavefront6targetE0EEEvSP_.uses_flat_scratch, 0
	.set _ZN7rocprim17ROCPRIM_400000_NS6detail17trampoline_kernelINS0_14default_configENS1_21merge_config_selectorIiNS0_10empty_typeEEEZNS1_10merge_implIS3_N6thrust23THRUST_200600_302600_NS6detail15normal_iteratorINS9_10device_ptrIKiEEEESF_NSB_INSC_IiEEEEPS5_SI_SI_NS9_4lessIiEEEE10hipError_tPvRmT0_T1_T2_T3_T4_T5_mmT6_P12ihipStream_tbEUlT_E_NS1_11comp_targetILNS1_3genE9ELNS1_11target_archE1100ELNS1_3gpuE3ELNS1_3repE0EEENS1_30default_config_static_selectorELNS0_4arch9wavefront6targetE0EEEvSP_.has_dyn_sized_stack, 0
	.set _ZN7rocprim17ROCPRIM_400000_NS6detail17trampoline_kernelINS0_14default_configENS1_21merge_config_selectorIiNS0_10empty_typeEEEZNS1_10merge_implIS3_N6thrust23THRUST_200600_302600_NS6detail15normal_iteratorINS9_10device_ptrIKiEEEESF_NSB_INSC_IiEEEEPS5_SI_SI_NS9_4lessIiEEEE10hipError_tPvRmT0_T1_T2_T3_T4_T5_mmT6_P12ihipStream_tbEUlT_E_NS1_11comp_targetILNS1_3genE9ELNS1_11target_archE1100ELNS1_3gpuE3ELNS1_3repE0EEENS1_30default_config_static_selectorELNS0_4arch9wavefront6targetE0EEEvSP_.has_recursion, 0
	.set _ZN7rocprim17ROCPRIM_400000_NS6detail17trampoline_kernelINS0_14default_configENS1_21merge_config_selectorIiNS0_10empty_typeEEEZNS1_10merge_implIS3_N6thrust23THRUST_200600_302600_NS6detail15normal_iteratorINS9_10device_ptrIKiEEEESF_NSB_INSC_IiEEEEPS5_SI_SI_NS9_4lessIiEEEE10hipError_tPvRmT0_T1_T2_T3_T4_T5_mmT6_P12ihipStream_tbEUlT_E_NS1_11comp_targetILNS1_3genE9ELNS1_11target_archE1100ELNS1_3gpuE3ELNS1_3repE0EEENS1_30default_config_static_selectorELNS0_4arch9wavefront6targetE0EEEvSP_.has_indirect_call, 0
	.section	.AMDGPU.csdata,"",@progbits
; Kernel info:
; codeLenInByte = 0
; TotalNumSgprs: 0
; NumVgprs: 0
; ScratchSize: 0
; MemoryBound: 0
; FloatMode: 240
; IeeeMode: 1
; LDSByteSize: 0 bytes/workgroup (compile time only)
; SGPRBlocks: 0
; VGPRBlocks: 0
; NumSGPRsForWavesPerEU: 1
; NumVGPRsForWavesPerEU: 1
; Occupancy: 16
; WaveLimiterHint : 0
; COMPUTE_PGM_RSRC2:SCRATCH_EN: 0
; COMPUTE_PGM_RSRC2:USER_SGPR: 6
; COMPUTE_PGM_RSRC2:TRAP_HANDLER: 0
; COMPUTE_PGM_RSRC2:TGID_X_EN: 1
; COMPUTE_PGM_RSRC2:TGID_Y_EN: 0
; COMPUTE_PGM_RSRC2:TGID_Z_EN: 0
; COMPUTE_PGM_RSRC2:TIDIG_COMP_CNT: 0
	.section	.text._ZN7rocprim17ROCPRIM_400000_NS6detail17trampoline_kernelINS0_14default_configENS1_21merge_config_selectorIiNS0_10empty_typeEEEZNS1_10merge_implIS3_N6thrust23THRUST_200600_302600_NS6detail15normal_iteratorINS9_10device_ptrIKiEEEESF_NSB_INSC_IiEEEEPS5_SI_SI_NS9_4lessIiEEEE10hipError_tPvRmT0_T1_T2_T3_T4_T5_mmT6_P12ihipStream_tbEUlT_E_NS1_11comp_targetILNS1_3genE8ELNS1_11target_archE1030ELNS1_3gpuE2ELNS1_3repE0EEENS1_30default_config_static_selectorELNS0_4arch9wavefront6targetE0EEEvSP_,"axG",@progbits,_ZN7rocprim17ROCPRIM_400000_NS6detail17trampoline_kernelINS0_14default_configENS1_21merge_config_selectorIiNS0_10empty_typeEEEZNS1_10merge_implIS3_N6thrust23THRUST_200600_302600_NS6detail15normal_iteratorINS9_10device_ptrIKiEEEESF_NSB_INSC_IiEEEEPS5_SI_SI_NS9_4lessIiEEEE10hipError_tPvRmT0_T1_T2_T3_T4_T5_mmT6_P12ihipStream_tbEUlT_E_NS1_11comp_targetILNS1_3genE8ELNS1_11target_archE1030ELNS1_3gpuE2ELNS1_3repE0EEENS1_30default_config_static_selectorELNS0_4arch9wavefront6targetE0EEEvSP_,comdat
	.protected	_ZN7rocprim17ROCPRIM_400000_NS6detail17trampoline_kernelINS0_14default_configENS1_21merge_config_selectorIiNS0_10empty_typeEEEZNS1_10merge_implIS3_N6thrust23THRUST_200600_302600_NS6detail15normal_iteratorINS9_10device_ptrIKiEEEESF_NSB_INSC_IiEEEEPS5_SI_SI_NS9_4lessIiEEEE10hipError_tPvRmT0_T1_T2_T3_T4_T5_mmT6_P12ihipStream_tbEUlT_E_NS1_11comp_targetILNS1_3genE8ELNS1_11target_archE1030ELNS1_3gpuE2ELNS1_3repE0EEENS1_30default_config_static_selectorELNS0_4arch9wavefront6targetE0EEEvSP_ ; -- Begin function _ZN7rocprim17ROCPRIM_400000_NS6detail17trampoline_kernelINS0_14default_configENS1_21merge_config_selectorIiNS0_10empty_typeEEEZNS1_10merge_implIS3_N6thrust23THRUST_200600_302600_NS6detail15normal_iteratorINS9_10device_ptrIKiEEEESF_NSB_INSC_IiEEEEPS5_SI_SI_NS9_4lessIiEEEE10hipError_tPvRmT0_T1_T2_T3_T4_T5_mmT6_P12ihipStream_tbEUlT_E_NS1_11comp_targetILNS1_3genE8ELNS1_11target_archE1030ELNS1_3gpuE2ELNS1_3repE0EEENS1_30default_config_static_selectorELNS0_4arch9wavefront6targetE0EEEvSP_
	.globl	_ZN7rocprim17ROCPRIM_400000_NS6detail17trampoline_kernelINS0_14default_configENS1_21merge_config_selectorIiNS0_10empty_typeEEEZNS1_10merge_implIS3_N6thrust23THRUST_200600_302600_NS6detail15normal_iteratorINS9_10device_ptrIKiEEEESF_NSB_INSC_IiEEEEPS5_SI_SI_NS9_4lessIiEEEE10hipError_tPvRmT0_T1_T2_T3_T4_T5_mmT6_P12ihipStream_tbEUlT_E_NS1_11comp_targetILNS1_3genE8ELNS1_11target_archE1030ELNS1_3gpuE2ELNS1_3repE0EEENS1_30default_config_static_selectorELNS0_4arch9wavefront6targetE0EEEvSP_
	.p2align	8
	.type	_ZN7rocprim17ROCPRIM_400000_NS6detail17trampoline_kernelINS0_14default_configENS1_21merge_config_selectorIiNS0_10empty_typeEEEZNS1_10merge_implIS3_N6thrust23THRUST_200600_302600_NS6detail15normal_iteratorINS9_10device_ptrIKiEEEESF_NSB_INSC_IiEEEEPS5_SI_SI_NS9_4lessIiEEEE10hipError_tPvRmT0_T1_T2_T3_T4_T5_mmT6_P12ihipStream_tbEUlT_E_NS1_11comp_targetILNS1_3genE8ELNS1_11target_archE1030ELNS1_3gpuE2ELNS1_3repE0EEENS1_30default_config_static_selectorELNS0_4arch9wavefront6targetE0EEEvSP_,@function
_ZN7rocprim17ROCPRIM_400000_NS6detail17trampoline_kernelINS0_14default_configENS1_21merge_config_selectorIiNS0_10empty_typeEEEZNS1_10merge_implIS3_N6thrust23THRUST_200600_302600_NS6detail15normal_iteratorINS9_10device_ptrIKiEEEESF_NSB_INSC_IiEEEEPS5_SI_SI_NS9_4lessIiEEEE10hipError_tPvRmT0_T1_T2_T3_T4_T5_mmT6_P12ihipStream_tbEUlT_E_NS1_11comp_targetILNS1_3genE8ELNS1_11target_archE1030ELNS1_3gpuE2ELNS1_3repE0EEENS1_30default_config_static_selectorELNS0_4arch9wavefront6targetE0EEEvSP_: ; @_ZN7rocprim17ROCPRIM_400000_NS6detail17trampoline_kernelINS0_14default_configENS1_21merge_config_selectorIiNS0_10empty_typeEEEZNS1_10merge_implIS3_N6thrust23THRUST_200600_302600_NS6detail15normal_iteratorINS9_10device_ptrIKiEEEESF_NSB_INSC_IiEEEEPS5_SI_SI_NS9_4lessIiEEEE10hipError_tPvRmT0_T1_T2_T3_T4_T5_mmT6_P12ihipStream_tbEUlT_E_NS1_11comp_targetILNS1_3genE8ELNS1_11target_archE1030ELNS1_3gpuE2ELNS1_3repE0EEENS1_30default_config_static_selectorELNS0_4arch9wavefront6targetE0EEEvSP_
; %bb.0:
	s_clause 0x3
	s_load_dword s7, s[4:5], 0x28
	s_load_dword s2, s[4:5], 0x3c
	s_load_dwordx2 s[0:1], s[4:5], 0x20
	s_load_dwordx8 s[8:15], s[4:5], 0x0
	s_waitcnt lgkmcnt(0)
	v_cvt_f32_u32_e32 v1, s7
	s_and_b32 s4, s2, 0xffff
	s_add_u32 s2, s0, s14
	s_addc_u32 s3, s1, s15
	v_rcp_iflag_f32_e32 v1, v1
	s_sub_i32 s16, 0, s7
	s_add_i32 s17, s7, s2
	s_add_i32 s17, s17, -1
	v_mul_f32_e32 v1, 0x4f7ffffe, v1
	v_cvt_u32_f32_e32 v1, v1
	v_readfirstlane_b32 s5, v1
	v_mad_u64_u32 v[0:1], null, s6, s4, v[0:1]
	s_mul_i32 s16, s16, s5
	s_mul_hi_u32 s16, s5, s16
	s_add_i32 s5, s5, s16
	s_mul_hi_u32 s5, s17, s5
	s_mul_i32 s16, s5, s7
	s_sub_i32 s16, s17, s16
	s_add_i32 s17, s5, 1
	s_sub_i32 s18, s16, s7
	s_cmp_ge_u32 s16, s7
	s_cselect_b32 s4, s17, s5
	s_cselect_b32 s5, s18, s16
	s_add_i32 s6, s4, 1
	s_cmp_ge_u32 s5, s7
	s_cselect_b32 s4, s6, s4
	v_cmp_ge_u32_e32 vcc_lo, s4, v0
	s_and_saveexec_b32 s4, vcc_lo
	s_cbranch_execz .LBB9_6
; %bb.1:
	v_mul_lo_u32 v1, v0, s7
	v_mov_b32_e32 v2, 0
	v_cmp_gt_u64_e32 vcc_lo, s[2:3], v[1:2]
	v_cndmask_b32_e32 v6, s2, v1, vcc_lo
	v_cndmask_b32_e64 v7, s3, 0, vcc_lo
	v_sub_co_u32 v1, vcc_lo, v6, s0
	v_subrev_co_ci_u32_e64 v2, null, s1, v7, vcc_lo
	v_cmp_gt_u64_e64 s0, s[14:15], v[6:7]
	v_cmp_gt_u64_e32 vcc_lo, v[1:2], v[6:7]
	v_cndmask_b32_e64 v5, s15, v7, s0
	v_cndmask_b32_e64 v4, s14, v6, s0
	s_mov_b32 s0, exec_lo
	v_cndmask_b32_e64 v3, v2, 0, vcc_lo
	v_cndmask_b32_e64 v2, v1, 0, vcc_lo
	v_cmpx_lt_u64_e64 v[2:3], v[4:5]
	s_cbranch_execz .LBB9_5
; %bb.2:
	v_lshlrev_b64 v[6:7], 2, v[6:7]
	s_mov_b32 s1, 0
	v_add_co_u32 v1, vcc_lo, s12, v6
	v_add_co_ci_u32_e64 v6, null, s13, v7, vcc_lo
	s_inst_prefetch 0x1
	.p2align	6
.LBB9_3:                                ; =>This Inner Loop Header: Depth=1
	v_add_co_u32 v7, vcc_lo, v4, v2
	v_add_co_ci_u32_e64 v8, null, v5, v3, vcc_lo
	v_lshrrev_b64 v[7:8], 1, v[7:8]
	v_lshlrev_b64 v[9:10], 2, v[7:8]
	v_xor_b32_e32 v11, -4, v9
	v_xor_b32_e32 v12, -1, v10
	v_add_co_u32 v9, vcc_lo, s10, v9
	v_add_co_ci_u32_e64 v10, null, s11, v10, vcc_lo
	v_add_co_u32 v11, vcc_lo, v1, v11
	v_add_co_ci_u32_e64 v12, null, v6, v12, vcc_lo
	global_load_dword v9, v[9:10], off
	global_load_dword v10, v[11:12], off
	v_add_co_u32 v11, vcc_lo, v7, 1
	v_add_co_ci_u32_e64 v12, null, 0, v8, vcc_lo
	s_waitcnt vmcnt(0)
	v_cmp_lt_i32_e32 vcc_lo, v10, v9
	v_cndmask_b32_e32 v5, v5, v8, vcc_lo
	v_cndmask_b32_e32 v4, v4, v7, vcc_lo
	;; [unrolled: 1-line block ×4, first 2 shown]
	v_cmp_ge_u64_e32 vcc_lo, v[2:3], v[4:5]
	s_or_b32 s1, vcc_lo, s1
	s_andn2_b32 exec_lo, exec_lo, s1
	s_cbranch_execnz .LBB9_3
; %bb.4:
	s_inst_prefetch 0x2
	s_or_b32 exec_lo, exec_lo, s1
.LBB9_5:
	s_or_b32 exec_lo, exec_lo, s0
	v_mov_b32_e32 v1, 0
	v_lshlrev_b64 v[0:1], 2, v[0:1]
	v_add_co_u32 v0, vcc_lo, s8, v0
	v_add_co_ci_u32_e64 v1, null, s9, v1, vcc_lo
	global_store_dword v[0:1], v2, off
.LBB9_6:
	s_endpgm
	.section	.rodata,"a",@progbits
	.p2align	6, 0x0
	.amdhsa_kernel _ZN7rocprim17ROCPRIM_400000_NS6detail17trampoline_kernelINS0_14default_configENS1_21merge_config_selectorIiNS0_10empty_typeEEEZNS1_10merge_implIS3_N6thrust23THRUST_200600_302600_NS6detail15normal_iteratorINS9_10device_ptrIKiEEEESF_NSB_INSC_IiEEEEPS5_SI_SI_NS9_4lessIiEEEE10hipError_tPvRmT0_T1_T2_T3_T4_T5_mmT6_P12ihipStream_tbEUlT_E_NS1_11comp_targetILNS1_3genE8ELNS1_11target_archE1030ELNS1_3gpuE2ELNS1_3repE0EEENS1_30default_config_static_selectorELNS0_4arch9wavefront6targetE0EEEvSP_
		.amdhsa_group_segment_fixed_size 0
		.amdhsa_private_segment_fixed_size 0
		.amdhsa_kernarg_size 304
		.amdhsa_user_sgpr_count 6
		.amdhsa_user_sgpr_private_segment_buffer 1
		.amdhsa_user_sgpr_dispatch_ptr 0
		.amdhsa_user_sgpr_queue_ptr 0
		.amdhsa_user_sgpr_kernarg_segment_ptr 1
		.amdhsa_user_sgpr_dispatch_id 0
		.amdhsa_user_sgpr_flat_scratch_init 0
		.amdhsa_user_sgpr_private_segment_size 0
		.amdhsa_wavefront_size32 1
		.amdhsa_uses_dynamic_stack 0
		.amdhsa_system_sgpr_private_segment_wavefront_offset 0
		.amdhsa_system_sgpr_workgroup_id_x 1
		.amdhsa_system_sgpr_workgroup_id_y 0
		.amdhsa_system_sgpr_workgroup_id_z 0
		.amdhsa_system_sgpr_workgroup_info 0
		.amdhsa_system_vgpr_workitem_id 0
		.amdhsa_next_free_vgpr 13
		.amdhsa_next_free_sgpr 19
		.amdhsa_reserve_vcc 1
		.amdhsa_reserve_flat_scratch 0
		.amdhsa_float_round_mode_32 0
		.amdhsa_float_round_mode_16_64 0
		.amdhsa_float_denorm_mode_32 3
		.amdhsa_float_denorm_mode_16_64 3
		.amdhsa_dx10_clamp 1
		.amdhsa_ieee_mode 1
		.amdhsa_fp16_overflow 0
		.amdhsa_workgroup_processor_mode 1
		.amdhsa_memory_ordered 1
		.amdhsa_forward_progress 1
		.amdhsa_shared_vgpr_count 0
		.amdhsa_exception_fp_ieee_invalid_op 0
		.amdhsa_exception_fp_denorm_src 0
		.amdhsa_exception_fp_ieee_div_zero 0
		.amdhsa_exception_fp_ieee_overflow 0
		.amdhsa_exception_fp_ieee_underflow 0
		.amdhsa_exception_fp_ieee_inexact 0
		.amdhsa_exception_int_div_zero 0
	.end_amdhsa_kernel
	.section	.text._ZN7rocprim17ROCPRIM_400000_NS6detail17trampoline_kernelINS0_14default_configENS1_21merge_config_selectorIiNS0_10empty_typeEEEZNS1_10merge_implIS3_N6thrust23THRUST_200600_302600_NS6detail15normal_iteratorINS9_10device_ptrIKiEEEESF_NSB_INSC_IiEEEEPS5_SI_SI_NS9_4lessIiEEEE10hipError_tPvRmT0_T1_T2_T3_T4_T5_mmT6_P12ihipStream_tbEUlT_E_NS1_11comp_targetILNS1_3genE8ELNS1_11target_archE1030ELNS1_3gpuE2ELNS1_3repE0EEENS1_30default_config_static_selectorELNS0_4arch9wavefront6targetE0EEEvSP_,"axG",@progbits,_ZN7rocprim17ROCPRIM_400000_NS6detail17trampoline_kernelINS0_14default_configENS1_21merge_config_selectorIiNS0_10empty_typeEEEZNS1_10merge_implIS3_N6thrust23THRUST_200600_302600_NS6detail15normal_iteratorINS9_10device_ptrIKiEEEESF_NSB_INSC_IiEEEEPS5_SI_SI_NS9_4lessIiEEEE10hipError_tPvRmT0_T1_T2_T3_T4_T5_mmT6_P12ihipStream_tbEUlT_E_NS1_11comp_targetILNS1_3genE8ELNS1_11target_archE1030ELNS1_3gpuE2ELNS1_3repE0EEENS1_30default_config_static_selectorELNS0_4arch9wavefront6targetE0EEEvSP_,comdat
.Lfunc_end9:
	.size	_ZN7rocprim17ROCPRIM_400000_NS6detail17trampoline_kernelINS0_14default_configENS1_21merge_config_selectorIiNS0_10empty_typeEEEZNS1_10merge_implIS3_N6thrust23THRUST_200600_302600_NS6detail15normal_iteratorINS9_10device_ptrIKiEEEESF_NSB_INSC_IiEEEEPS5_SI_SI_NS9_4lessIiEEEE10hipError_tPvRmT0_T1_T2_T3_T4_T5_mmT6_P12ihipStream_tbEUlT_E_NS1_11comp_targetILNS1_3genE8ELNS1_11target_archE1030ELNS1_3gpuE2ELNS1_3repE0EEENS1_30default_config_static_selectorELNS0_4arch9wavefront6targetE0EEEvSP_, .Lfunc_end9-_ZN7rocprim17ROCPRIM_400000_NS6detail17trampoline_kernelINS0_14default_configENS1_21merge_config_selectorIiNS0_10empty_typeEEEZNS1_10merge_implIS3_N6thrust23THRUST_200600_302600_NS6detail15normal_iteratorINS9_10device_ptrIKiEEEESF_NSB_INSC_IiEEEEPS5_SI_SI_NS9_4lessIiEEEE10hipError_tPvRmT0_T1_T2_T3_T4_T5_mmT6_P12ihipStream_tbEUlT_E_NS1_11comp_targetILNS1_3genE8ELNS1_11target_archE1030ELNS1_3gpuE2ELNS1_3repE0EEENS1_30default_config_static_selectorELNS0_4arch9wavefront6targetE0EEEvSP_
                                        ; -- End function
	.set _ZN7rocprim17ROCPRIM_400000_NS6detail17trampoline_kernelINS0_14default_configENS1_21merge_config_selectorIiNS0_10empty_typeEEEZNS1_10merge_implIS3_N6thrust23THRUST_200600_302600_NS6detail15normal_iteratorINS9_10device_ptrIKiEEEESF_NSB_INSC_IiEEEEPS5_SI_SI_NS9_4lessIiEEEE10hipError_tPvRmT0_T1_T2_T3_T4_T5_mmT6_P12ihipStream_tbEUlT_E_NS1_11comp_targetILNS1_3genE8ELNS1_11target_archE1030ELNS1_3gpuE2ELNS1_3repE0EEENS1_30default_config_static_selectorELNS0_4arch9wavefront6targetE0EEEvSP_.num_vgpr, 13
	.set _ZN7rocprim17ROCPRIM_400000_NS6detail17trampoline_kernelINS0_14default_configENS1_21merge_config_selectorIiNS0_10empty_typeEEEZNS1_10merge_implIS3_N6thrust23THRUST_200600_302600_NS6detail15normal_iteratorINS9_10device_ptrIKiEEEESF_NSB_INSC_IiEEEEPS5_SI_SI_NS9_4lessIiEEEE10hipError_tPvRmT0_T1_T2_T3_T4_T5_mmT6_P12ihipStream_tbEUlT_E_NS1_11comp_targetILNS1_3genE8ELNS1_11target_archE1030ELNS1_3gpuE2ELNS1_3repE0EEENS1_30default_config_static_selectorELNS0_4arch9wavefront6targetE0EEEvSP_.num_agpr, 0
	.set _ZN7rocprim17ROCPRIM_400000_NS6detail17trampoline_kernelINS0_14default_configENS1_21merge_config_selectorIiNS0_10empty_typeEEEZNS1_10merge_implIS3_N6thrust23THRUST_200600_302600_NS6detail15normal_iteratorINS9_10device_ptrIKiEEEESF_NSB_INSC_IiEEEEPS5_SI_SI_NS9_4lessIiEEEE10hipError_tPvRmT0_T1_T2_T3_T4_T5_mmT6_P12ihipStream_tbEUlT_E_NS1_11comp_targetILNS1_3genE8ELNS1_11target_archE1030ELNS1_3gpuE2ELNS1_3repE0EEENS1_30default_config_static_selectorELNS0_4arch9wavefront6targetE0EEEvSP_.numbered_sgpr, 19
	.set _ZN7rocprim17ROCPRIM_400000_NS6detail17trampoline_kernelINS0_14default_configENS1_21merge_config_selectorIiNS0_10empty_typeEEEZNS1_10merge_implIS3_N6thrust23THRUST_200600_302600_NS6detail15normal_iteratorINS9_10device_ptrIKiEEEESF_NSB_INSC_IiEEEEPS5_SI_SI_NS9_4lessIiEEEE10hipError_tPvRmT0_T1_T2_T3_T4_T5_mmT6_P12ihipStream_tbEUlT_E_NS1_11comp_targetILNS1_3genE8ELNS1_11target_archE1030ELNS1_3gpuE2ELNS1_3repE0EEENS1_30default_config_static_selectorELNS0_4arch9wavefront6targetE0EEEvSP_.num_named_barrier, 0
	.set _ZN7rocprim17ROCPRIM_400000_NS6detail17trampoline_kernelINS0_14default_configENS1_21merge_config_selectorIiNS0_10empty_typeEEEZNS1_10merge_implIS3_N6thrust23THRUST_200600_302600_NS6detail15normal_iteratorINS9_10device_ptrIKiEEEESF_NSB_INSC_IiEEEEPS5_SI_SI_NS9_4lessIiEEEE10hipError_tPvRmT0_T1_T2_T3_T4_T5_mmT6_P12ihipStream_tbEUlT_E_NS1_11comp_targetILNS1_3genE8ELNS1_11target_archE1030ELNS1_3gpuE2ELNS1_3repE0EEENS1_30default_config_static_selectorELNS0_4arch9wavefront6targetE0EEEvSP_.private_seg_size, 0
	.set _ZN7rocprim17ROCPRIM_400000_NS6detail17trampoline_kernelINS0_14default_configENS1_21merge_config_selectorIiNS0_10empty_typeEEEZNS1_10merge_implIS3_N6thrust23THRUST_200600_302600_NS6detail15normal_iteratorINS9_10device_ptrIKiEEEESF_NSB_INSC_IiEEEEPS5_SI_SI_NS9_4lessIiEEEE10hipError_tPvRmT0_T1_T2_T3_T4_T5_mmT6_P12ihipStream_tbEUlT_E_NS1_11comp_targetILNS1_3genE8ELNS1_11target_archE1030ELNS1_3gpuE2ELNS1_3repE0EEENS1_30default_config_static_selectorELNS0_4arch9wavefront6targetE0EEEvSP_.uses_vcc, 1
	.set _ZN7rocprim17ROCPRIM_400000_NS6detail17trampoline_kernelINS0_14default_configENS1_21merge_config_selectorIiNS0_10empty_typeEEEZNS1_10merge_implIS3_N6thrust23THRUST_200600_302600_NS6detail15normal_iteratorINS9_10device_ptrIKiEEEESF_NSB_INSC_IiEEEEPS5_SI_SI_NS9_4lessIiEEEE10hipError_tPvRmT0_T1_T2_T3_T4_T5_mmT6_P12ihipStream_tbEUlT_E_NS1_11comp_targetILNS1_3genE8ELNS1_11target_archE1030ELNS1_3gpuE2ELNS1_3repE0EEENS1_30default_config_static_selectorELNS0_4arch9wavefront6targetE0EEEvSP_.uses_flat_scratch, 0
	.set _ZN7rocprim17ROCPRIM_400000_NS6detail17trampoline_kernelINS0_14default_configENS1_21merge_config_selectorIiNS0_10empty_typeEEEZNS1_10merge_implIS3_N6thrust23THRUST_200600_302600_NS6detail15normal_iteratorINS9_10device_ptrIKiEEEESF_NSB_INSC_IiEEEEPS5_SI_SI_NS9_4lessIiEEEE10hipError_tPvRmT0_T1_T2_T3_T4_T5_mmT6_P12ihipStream_tbEUlT_E_NS1_11comp_targetILNS1_3genE8ELNS1_11target_archE1030ELNS1_3gpuE2ELNS1_3repE0EEENS1_30default_config_static_selectorELNS0_4arch9wavefront6targetE0EEEvSP_.has_dyn_sized_stack, 0
	.set _ZN7rocprim17ROCPRIM_400000_NS6detail17trampoline_kernelINS0_14default_configENS1_21merge_config_selectorIiNS0_10empty_typeEEEZNS1_10merge_implIS3_N6thrust23THRUST_200600_302600_NS6detail15normal_iteratorINS9_10device_ptrIKiEEEESF_NSB_INSC_IiEEEEPS5_SI_SI_NS9_4lessIiEEEE10hipError_tPvRmT0_T1_T2_T3_T4_T5_mmT6_P12ihipStream_tbEUlT_E_NS1_11comp_targetILNS1_3genE8ELNS1_11target_archE1030ELNS1_3gpuE2ELNS1_3repE0EEENS1_30default_config_static_selectorELNS0_4arch9wavefront6targetE0EEEvSP_.has_recursion, 0
	.set _ZN7rocprim17ROCPRIM_400000_NS6detail17trampoline_kernelINS0_14default_configENS1_21merge_config_selectorIiNS0_10empty_typeEEEZNS1_10merge_implIS3_N6thrust23THRUST_200600_302600_NS6detail15normal_iteratorINS9_10device_ptrIKiEEEESF_NSB_INSC_IiEEEEPS5_SI_SI_NS9_4lessIiEEEE10hipError_tPvRmT0_T1_T2_T3_T4_T5_mmT6_P12ihipStream_tbEUlT_E_NS1_11comp_targetILNS1_3genE8ELNS1_11target_archE1030ELNS1_3gpuE2ELNS1_3repE0EEENS1_30default_config_static_selectorELNS0_4arch9wavefront6targetE0EEEvSP_.has_indirect_call, 0
	.section	.AMDGPU.csdata,"",@progbits
; Kernel info:
; codeLenInByte = 516
; TotalNumSgprs: 21
; NumVgprs: 13
; ScratchSize: 0
; MemoryBound: 0
; FloatMode: 240
; IeeeMode: 1
; LDSByteSize: 0 bytes/workgroup (compile time only)
; SGPRBlocks: 0
; VGPRBlocks: 1
; NumSGPRsForWavesPerEU: 21
; NumVGPRsForWavesPerEU: 13
; Occupancy: 16
; WaveLimiterHint : 0
; COMPUTE_PGM_RSRC2:SCRATCH_EN: 0
; COMPUTE_PGM_RSRC2:USER_SGPR: 6
; COMPUTE_PGM_RSRC2:TRAP_HANDLER: 0
; COMPUTE_PGM_RSRC2:TGID_X_EN: 1
; COMPUTE_PGM_RSRC2:TGID_Y_EN: 0
; COMPUTE_PGM_RSRC2:TGID_Z_EN: 0
; COMPUTE_PGM_RSRC2:TIDIG_COMP_CNT: 0
	.section	.text._ZN7rocprim17ROCPRIM_400000_NS6detail17trampoline_kernelINS0_14default_configENS1_21merge_config_selectorIiNS0_10empty_typeEEEZNS1_10merge_implIS3_N6thrust23THRUST_200600_302600_NS6detail15normal_iteratorINS9_10device_ptrIKiEEEESF_NSB_INSC_IiEEEEPS5_SI_SI_NS9_4lessIiEEEE10hipError_tPvRmT0_T1_T2_T3_T4_T5_mmT6_P12ihipStream_tbEUlT_E0_NS1_11comp_targetILNS1_3genE0ELNS1_11target_archE4294967295ELNS1_3gpuE0ELNS1_3repE0EEENS1_30default_config_static_selectorELNS0_4arch9wavefront6targetE0EEEvSP_,"axG",@progbits,_ZN7rocprim17ROCPRIM_400000_NS6detail17trampoline_kernelINS0_14default_configENS1_21merge_config_selectorIiNS0_10empty_typeEEEZNS1_10merge_implIS3_N6thrust23THRUST_200600_302600_NS6detail15normal_iteratorINS9_10device_ptrIKiEEEESF_NSB_INSC_IiEEEEPS5_SI_SI_NS9_4lessIiEEEE10hipError_tPvRmT0_T1_T2_T3_T4_T5_mmT6_P12ihipStream_tbEUlT_E0_NS1_11comp_targetILNS1_3genE0ELNS1_11target_archE4294967295ELNS1_3gpuE0ELNS1_3repE0EEENS1_30default_config_static_selectorELNS0_4arch9wavefront6targetE0EEEvSP_,comdat
	.protected	_ZN7rocprim17ROCPRIM_400000_NS6detail17trampoline_kernelINS0_14default_configENS1_21merge_config_selectorIiNS0_10empty_typeEEEZNS1_10merge_implIS3_N6thrust23THRUST_200600_302600_NS6detail15normal_iteratorINS9_10device_ptrIKiEEEESF_NSB_INSC_IiEEEEPS5_SI_SI_NS9_4lessIiEEEE10hipError_tPvRmT0_T1_T2_T3_T4_T5_mmT6_P12ihipStream_tbEUlT_E0_NS1_11comp_targetILNS1_3genE0ELNS1_11target_archE4294967295ELNS1_3gpuE0ELNS1_3repE0EEENS1_30default_config_static_selectorELNS0_4arch9wavefront6targetE0EEEvSP_ ; -- Begin function _ZN7rocprim17ROCPRIM_400000_NS6detail17trampoline_kernelINS0_14default_configENS1_21merge_config_selectorIiNS0_10empty_typeEEEZNS1_10merge_implIS3_N6thrust23THRUST_200600_302600_NS6detail15normal_iteratorINS9_10device_ptrIKiEEEESF_NSB_INSC_IiEEEEPS5_SI_SI_NS9_4lessIiEEEE10hipError_tPvRmT0_T1_T2_T3_T4_T5_mmT6_P12ihipStream_tbEUlT_E0_NS1_11comp_targetILNS1_3genE0ELNS1_11target_archE4294967295ELNS1_3gpuE0ELNS1_3repE0EEENS1_30default_config_static_selectorELNS0_4arch9wavefront6targetE0EEEvSP_
	.globl	_ZN7rocprim17ROCPRIM_400000_NS6detail17trampoline_kernelINS0_14default_configENS1_21merge_config_selectorIiNS0_10empty_typeEEEZNS1_10merge_implIS3_N6thrust23THRUST_200600_302600_NS6detail15normal_iteratorINS9_10device_ptrIKiEEEESF_NSB_INSC_IiEEEEPS5_SI_SI_NS9_4lessIiEEEE10hipError_tPvRmT0_T1_T2_T3_T4_T5_mmT6_P12ihipStream_tbEUlT_E0_NS1_11comp_targetILNS1_3genE0ELNS1_11target_archE4294967295ELNS1_3gpuE0ELNS1_3repE0EEENS1_30default_config_static_selectorELNS0_4arch9wavefront6targetE0EEEvSP_
	.p2align	8
	.type	_ZN7rocprim17ROCPRIM_400000_NS6detail17trampoline_kernelINS0_14default_configENS1_21merge_config_selectorIiNS0_10empty_typeEEEZNS1_10merge_implIS3_N6thrust23THRUST_200600_302600_NS6detail15normal_iteratorINS9_10device_ptrIKiEEEESF_NSB_INSC_IiEEEEPS5_SI_SI_NS9_4lessIiEEEE10hipError_tPvRmT0_T1_T2_T3_T4_T5_mmT6_P12ihipStream_tbEUlT_E0_NS1_11comp_targetILNS1_3genE0ELNS1_11target_archE4294967295ELNS1_3gpuE0ELNS1_3repE0EEENS1_30default_config_static_selectorELNS0_4arch9wavefront6targetE0EEEvSP_,@function
_ZN7rocprim17ROCPRIM_400000_NS6detail17trampoline_kernelINS0_14default_configENS1_21merge_config_selectorIiNS0_10empty_typeEEEZNS1_10merge_implIS3_N6thrust23THRUST_200600_302600_NS6detail15normal_iteratorINS9_10device_ptrIKiEEEESF_NSB_INSC_IiEEEEPS5_SI_SI_NS9_4lessIiEEEE10hipError_tPvRmT0_T1_T2_T3_T4_T5_mmT6_P12ihipStream_tbEUlT_E0_NS1_11comp_targetILNS1_3genE0ELNS1_11target_archE4294967295ELNS1_3gpuE0ELNS1_3repE0EEENS1_30default_config_static_selectorELNS0_4arch9wavefront6targetE0EEEvSP_: ; @_ZN7rocprim17ROCPRIM_400000_NS6detail17trampoline_kernelINS0_14default_configENS1_21merge_config_selectorIiNS0_10empty_typeEEEZNS1_10merge_implIS3_N6thrust23THRUST_200600_302600_NS6detail15normal_iteratorINS9_10device_ptrIKiEEEESF_NSB_INSC_IiEEEEPS5_SI_SI_NS9_4lessIiEEEE10hipError_tPvRmT0_T1_T2_T3_T4_T5_mmT6_P12ihipStream_tbEUlT_E0_NS1_11comp_targetILNS1_3genE0ELNS1_11target_archE4294967295ELNS1_3gpuE0ELNS1_3repE0EEENS1_30default_config_static_selectorELNS0_4arch9wavefront6targetE0EEEvSP_
; %bb.0:
	.section	.rodata,"a",@progbits
	.p2align	6, 0x0
	.amdhsa_kernel _ZN7rocprim17ROCPRIM_400000_NS6detail17trampoline_kernelINS0_14default_configENS1_21merge_config_selectorIiNS0_10empty_typeEEEZNS1_10merge_implIS3_N6thrust23THRUST_200600_302600_NS6detail15normal_iteratorINS9_10device_ptrIKiEEEESF_NSB_INSC_IiEEEEPS5_SI_SI_NS9_4lessIiEEEE10hipError_tPvRmT0_T1_T2_T3_T4_T5_mmT6_P12ihipStream_tbEUlT_E0_NS1_11comp_targetILNS1_3genE0ELNS1_11target_archE4294967295ELNS1_3gpuE0ELNS1_3repE0EEENS1_30default_config_static_selectorELNS0_4arch9wavefront6targetE0EEEvSP_
		.amdhsa_group_segment_fixed_size 0
		.amdhsa_private_segment_fixed_size 0
		.amdhsa_kernarg_size 88
		.amdhsa_user_sgpr_count 6
		.amdhsa_user_sgpr_private_segment_buffer 1
		.amdhsa_user_sgpr_dispatch_ptr 0
		.amdhsa_user_sgpr_queue_ptr 0
		.amdhsa_user_sgpr_kernarg_segment_ptr 1
		.amdhsa_user_sgpr_dispatch_id 0
		.amdhsa_user_sgpr_flat_scratch_init 0
		.amdhsa_user_sgpr_private_segment_size 0
		.amdhsa_wavefront_size32 1
		.amdhsa_uses_dynamic_stack 0
		.amdhsa_system_sgpr_private_segment_wavefront_offset 0
		.amdhsa_system_sgpr_workgroup_id_x 1
		.amdhsa_system_sgpr_workgroup_id_y 0
		.amdhsa_system_sgpr_workgroup_id_z 0
		.amdhsa_system_sgpr_workgroup_info 0
		.amdhsa_system_vgpr_workitem_id 0
		.amdhsa_next_free_vgpr 1
		.amdhsa_next_free_sgpr 1
		.amdhsa_reserve_vcc 0
		.amdhsa_reserve_flat_scratch 0
		.amdhsa_float_round_mode_32 0
		.amdhsa_float_round_mode_16_64 0
		.amdhsa_float_denorm_mode_32 3
		.amdhsa_float_denorm_mode_16_64 3
		.amdhsa_dx10_clamp 1
		.amdhsa_ieee_mode 1
		.amdhsa_fp16_overflow 0
		.amdhsa_workgroup_processor_mode 1
		.amdhsa_memory_ordered 1
		.amdhsa_forward_progress 1
		.amdhsa_shared_vgpr_count 0
		.amdhsa_exception_fp_ieee_invalid_op 0
		.amdhsa_exception_fp_denorm_src 0
		.amdhsa_exception_fp_ieee_div_zero 0
		.amdhsa_exception_fp_ieee_overflow 0
		.amdhsa_exception_fp_ieee_underflow 0
		.amdhsa_exception_fp_ieee_inexact 0
		.amdhsa_exception_int_div_zero 0
	.end_amdhsa_kernel
	.section	.text._ZN7rocprim17ROCPRIM_400000_NS6detail17trampoline_kernelINS0_14default_configENS1_21merge_config_selectorIiNS0_10empty_typeEEEZNS1_10merge_implIS3_N6thrust23THRUST_200600_302600_NS6detail15normal_iteratorINS9_10device_ptrIKiEEEESF_NSB_INSC_IiEEEEPS5_SI_SI_NS9_4lessIiEEEE10hipError_tPvRmT0_T1_T2_T3_T4_T5_mmT6_P12ihipStream_tbEUlT_E0_NS1_11comp_targetILNS1_3genE0ELNS1_11target_archE4294967295ELNS1_3gpuE0ELNS1_3repE0EEENS1_30default_config_static_selectorELNS0_4arch9wavefront6targetE0EEEvSP_,"axG",@progbits,_ZN7rocprim17ROCPRIM_400000_NS6detail17trampoline_kernelINS0_14default_configENS1_21merge_config_selectorIiNS0_10empty_typeEEEZNS1_10merge_implIS3_N6thrust23THRUST_200600_302600_NS6detail15normal_iteratorINS9_10device_ptrIKiEEEESF_NSB_INSC_IiEEEEPS5_SI_SI_NS9_4lessIiEEEE10hipError_tPvRmT0_T1_T2_T3_T4_T5_mmT6_P12ihipStream_tbEUlT_E0_NS1_11comp_targetILNS1_3genE0ELNS1_11target_archE4294967295ELNS1_3gpuE0ELNS1_3repE0EEENS1_30default_config_static_selectorELNS0_4arch9wavefront6targetE0EEEvSP_,comdat
.Lfunc_end10:
	.size	_ZN7rocprim17ROCPRIM_400000_NS6detail17trampoline_kernelINS0_14default_configENS1_21merge_config_selectorIiNS0_10empty_typeEEEZNS1_10merge_implIS3_N6thrust23THRUST_200600_302600_NS6detail15normal_iteratorINS9_10device_ptrIKiEEEESF_NSB_INSC_IiEEEEPS5_SI_SI_NS9_4lessIiEEEE10hipError_tPvRmT0_T1_T2_T3_T4_T5_mmT6_P12ihipStream_tbEUlT_E0_NS1_11comp_targetILNS1_3genE0ELNS1_11target_archE4294967295ELNS1_3gpuE0ELNS1_3repE0EEENS1_30default_config_static_selectorELNS0_4arch9wavefront6targetE0EEEvSP_, .Lfunc_end10-_ZN7rocprim17ROCPRIM_400000_NS6detail17trampoline_kernelINS0_14default_configENS1_21merge_config_selectorIiNS0_10empty_typeEEEZNS1_10merge_implIS3_N6thrust23THRUST_200600_302600_NS6detail15normal_iteratorINS9_10device_ptrIKiEEEESF_NSB_INSC_IiEEEEPS5_SI_SI_NS9_4lessIiEEEE10hipError_tPvRmT0_T1_T2_T3_T4_T5_mmT6_P12ihipStream_tbEUlT_E0_NS1_11comp_targetILNS1_3genE0ELNS1_11target_archE4294967295ELNS1_3gpuE0ELNS1_3repE0EEENS1_30default_config_static_selectorELNS0_4arch9wavefront6targetE0EEEvSP_
                                        ; -- End function
	.set _ZN7rocprim17ROCPRIM_400000_NS6detail17trampoline_kernelINS0_14default_configENS1_21merge_config_selectorIiNS0_10empty_typeEEEZNS1_10merge_implIS3_N6thrust23THRUST_200600_302600_NS6detail15normal_iteratorINS9_10device_ptrIKiEEEESF_NSB_INSC_IiEEEEPS5_SI_SI_NS9_4lessIiEEEE10hipError_tPvRmT0_T1_T2_T3_T4_T5_mmT6_P12ihipStream_tbEUlT_E0_NS1_11comp_targetILNS1_3genE0ELNS1_11target_archE4294967295ELNS1_3gpuE0ELNS1_3repE0EEENS1_30default_config_static_selectorELNS0_4arch9wavefront6targetE0EEEvSP_.num_vgpr, 0
	.set _ZN7rocprim17ROCPRIM_400000_NS6detail17trampoline_kernelINS0_14default_configENS1_21merge_config_selectorIiNS0_10empty_typeEEEZNS1_10merge_implIS3_N6thrust23THRUST_200600_302600_NS6detail15normal_iteratorINS9_10device_ptrIKiEEEESF_NSB_INSC_IiEEEEPS5_SI_SI_NS9_4lessIiEEEE10hipError_tPvRmT0_T1_T2_T3_T4_T5_mmT6_P12ihipStream_tbEUlT_E0_NS1_11comp_targetILNS1_3genE0ELNS1_11target_archE4294967295ELNS1_3gpuE0ELNS1_3repE0EEENS1_30default_config_static_selectorELNS0_4arch9wavefront6targetE0EEEvSP_.num_agpr, 0
	.set _ZN7rocprim17ROCPRIM_400000_NS6detail17trampoline_kernelINS0_14default_configENS1_21merge_config_selectorIiNS0_10empty_typeEEEZNS1_10merge_implIS3_N6thrust23THRUST_200600_302600_NS6detail15normal_iteratorINS9_10device_ptrIKiEEEESF_NSB_INSC_IiEEEEPS5_SI_SI_NS9_4lessIiEEEE10hipError_tPvRmT0_T1_T2_T3_T4_T5_mmT6_P12ihipStream_tbEUlT_E0_NS1_11comp_targetILNS1_3genE0ELNS1_11target_archE4294967295ELNS1_3gpuE0ELNS1_3repE0EEENS1_30default_config_static_selectorELNS0_4arch9wavefront6targetE0EEEvSP_.numbered_sgpr, 0
	.set _ZN7rocprim17ROCPRIM_400000_NS6detail17trampoline_kernelINS0_14default_configENS1_21merge_config_selectorIiNS0_10empty_typeEEEZNS1_10merge_implIS3_N6thrust23THRUST_200600_302600_NS6detail15normal_iteratorINS9_10device_ptrIKiEEEESF_NSB_INSC_IiEEEEPS5_SI_SI_NS9_4lessIiEEEE10hipError_tPvRmT0_T1_T2_T3_T4_T5_mmT6_P12ihipStream_tbEUlT_E0_NS1_11comp_targetILNS1_3genE0ELNS1_11target_archE4294967295ELNS1_3gpuE0ELNS1_3repE0EEENS1_30default_config_static_selectorELNS0_4arch9wavefront6targetE0EEEvSP_.num_named_barrier, 0
	.set _ZN7rocprim17ROCPRIM_400000_NS6detail17trampoline_kernelINS0_14default_configENS1_21merge_config_selectorIiNS0_10empty_typeEEEZNS1_10merge_implIS3_N6thrust23THRUST_200600_302600_NS6detail15normal_iteratorINS9_10device_ptrIKiEEEESF_NSB_INSC_IiEEEEPS5_SI_SI_NS9_4lessIiEEEE10hipError_tPvRmT0_T1_T2_T3_T4_T5_mmT6_P12ihipStream_tbEUlT_E0_NS1_11comp_targetILNS1_3genE0ELNS1_11target_archE4294967295ELNS1_3gpuE0ELNS1_3repE0EEENS1_30default_config_static_selectorELNS0_4arch9wavefront6targetE0EEEvSP_.private_seg_size, 0
	.set _ZN7rocprim17ROCPRIM_400000_NS6detail17trampoline_kernelINS0_14default_configENS1_21merge_config_selectorIiNS0_10empty_typeEEEZNS1_10merge_implIS3_N6thrust23THRUST_200600_302600_NS6detail15normal_iteratorINS9_10device_ptrIKiEEEESF_NSB_INSC_IiEEEEPS5_SI_SI_NS9_4lessIiEEEE10hipError_tPvRmT0_T1_T2_T3_T4_T5_mmT6_P12ihipStream_tbEUlT_E0_NS1_11comp_targetILNS1_3genE0ELNS1_11target_archE4294967295ELNS1_3gpuE0ELNS1_3repE0EEENS1_30default_config_static_selectorELNS0_4arch9wavefront6targetE0EEEvSP_.uses_vcc, 0
	.set _ZN7rocprim17ROCPRIM_400000_NS6detail17trampoline_kernelINS0_14default_configENS1_21merge_config_selectorIiNS0_10empty_typeEEEZNS1_10merge_implIS3_N6thrust23THRUST_200600_302600_NS6detail15normal_iteratorINS9_10device_ptrIKiEEEESF_NSB_INSC_IiEEEEPS5_SI_SI_NS9_4lessIiEEEE10hipError_tPvRmT0_T1_T2_T3_T4_T5_mmT6_P12ihipStream_tbEUlT_E0_NS1_11comp_targetILNS1_3genE0ELNS1_11target_archE4294967295ELNS1_3gpuE0ELNS1_3repE0EEENS1_30default_config_static_selectorELNS0_4arch9wavefront6targetE0EEEvSP_.uses_flat_scratch, 0
	.set _ZN7rocprim17ROCPRIM_400000_NS6detail17trampoline_kernelINS0_14default_configENS1_21merge_config_selectorIiNS0_10empty_typeEEEZNS1_10merge_implIS3_N6thrust23THRUST_200600_302600_NS6detail15normal_iteratorINS9_10device_ptrIKiEEEESF_NSB_INSC_IiEEEEPS5_SI_SI_NS9_4lessIiEEEE10hipError_tPvRmT0_T1_T2_T3_T4_T5_mmT6_P12ihipStream_tbEUlT_E0_NS1_11comp_targetILNS1_3genE0ELNS1_11target_archE4294967295ELNS1_3gpuE0ELNS1_3repE0EEENS1_30default_config_static_selectorELNS0_4arch9wavefront6targetE0EEEvSP_.has_dyn_sized_stack, 0
	.set _ZN7rocprim17ROCPRIM_400000_NS6detail17trampoline_kernelINS0_14default_configENS1_21merge_config_selectorIiNS0_10empty_typeEEEZNS1_10merge_implIS3_N6thrust23THRUST_200600_302600_NS6detail15normal_iteratorINS9_10device_ptrIKiEEEESF_NSB_INSC_IiEEEEPS5_SI_SI_NS9_4lessIiEEEE10hipError_tPvRmT0_T1_T2_T3_T4_T5_mmT6_P12ihipStream_tbEUlT_E0_NS1_11comp_targetILNS1_3genE0ELNS1_11target_archE4294967295ELNS1_3gpuE0ELNS1_3repE0EEENS1_30default_config_static_selectorELNS0_4arch9wavefront6targetE0EEEvSP_.has_recursion, 0
	.set _ZN7rocprim17ROCPRIM_400000_NS6detail17trampoline_kernelINS0_14default_configENS1_21merge_config_selectorIiNS0_10empty_typeEEEZNS1_10merge_implIS3_N6thrust23THRUST_200600_302600_NS6detail15normal_iteratorINS9_10device_ptrIKiEEEESF_NSB_INSC_IiEEEEPS5_SI_SI_NS9_4lessIiEEEE10hipError_tPvRmT0_T1_T2_T3_T4_T5_mmT6_P12ihipStream_tbEUlT_E0_NS1_11comp_targetILNS1_3genE0ELNS1_11target_archE4294967295ELNS1_3gpuE0ELNS1_3repE0EEENS1_30default_config_static_selectorELNS0_4arch9wavefront6targetE0EEEvSP_.has_indirect_call, 0
	.section	.AMDGPU.csdata,"",@progbits
; Kernel info:
; codeLenInByte = 0
; TotalNumSgprs: 0
; NumVgprs: 0
; ScratchSize: 0
; MemoryBound: 0
; FloatMode: 240
; IeeeMode: 1
; LDSByteSize: 0 bytes/workgroup (compile time only)
; SGPRBlocks: 0
; VGPRBlocks: 0
; NumSGPRsForWavesPerEU: 1
; NumVGPRsForWavesPerEU: 1
; Occupancy: 16
; WaveLimiterHint : 0
; COMPUTE_PGM_RSRC2:SCRATCH_EN: 0
; COMPUTE_PGM_RSRC2:USER_SGPR: 6
; COMPUTE_PGM_RSRC2:TRAP_HANDLER: 0
; COMPUTE_PGM_RSRC2:TGID_X_EN: 1
; COMPUTE_PGM_RSRC2:TGID_Y_EN: 0
; COMPUTE_PGM_RSRC2:TGID_Z_EN: 0
; COMPUTE_PGM_RSRC2:TIDIG_COMP_CNT: 0
	.section	.text._ZN7rocprim17ROCPRIM_400000_NS6detail17trampoline_kernelINS0_14default_configENS1_21merge_config_selectorIiNS0_10empty_typeEEEZNS1_10merge_implIS3_N6thrust23THRUST_200600_302600_NS6detail15normal_iteratorINS9_10device_ptrIKiEEEESF_NSB_INSC_IiEEEEPS5_SI_SI_NS9_4lessIiEEEE10hipError_tPvRmT0_T1_T2_T3_T4_T5_mmT6_P12ihipStream_tbEUlT_E0_NS1_11comp_targetILNS1_3genE5ELNS1_11target_archE942ELNS1_3gpuE9ELNS1_3repE0EEENS1_30default_config_static_selectorELNS0_4arch9wavefront6targetE0EEEvSP_,"axG",@progbits,_ZN7rocprim17ROCPRIM_400000_NS6detail17trampoline_kernelINS0_14default_configENS1_21merge_config_selectorIiNS0_10empty_typeEEEZNS1_10merge_implIS3_N6thrust23THRUST_200600_302600_NS6detail15normal_iteratorINS9_10device_ptrIKiEEEESF_NSB_INSC_IiEEEEPS5_SI_SI_NS9_4lessIiEEEE10hipError_tPvRmT0_T1_T2_T3_T4_T5_mmT6_P12ihipStream_tbEUlT_E0_NS1_11comp_targetILNS1_3genE5ELNS1_11target_archE942ELNS1_3gpuE9ELNS1_3repE0EEENS1_30default_config_static_selectorELNS0_4arch9wavefront6targetE0EEEvSP_,comdat
	.protected	_ZN7rocprim17ROCPRIM_400000_NS6detail17trampoline_kernelINS0_14default_configENS1_21merge_config_selectorIiNS0_10empty_typeEEEZNS1_10merge_implIS3_N6thrust23THRUST_200600_302600_NS6detail15normal_iteratorINS9_10device_ptrIKiEEEESF_NSB_INSC_IiEEEEPS5_SI_SI_NS9_4lessIiEEEE10hipError_tPvRmT0_T1_T2_T3_T4_T5_mmT6_P12ihipStream_tbEUlT_E0_NS1_11comp_targetILNS1_3genE5ELNS1_11target_archE942ELNS1_3gpuE9ELNS1_3repE0EEENS1_30default_config_static_selectorELNS0_4arch9wavefront6targetE0EEEvSP_ ; -- Begin function _ZN7rocprim17ROCPRIM_400000_NS6detail17trampoline_kernelINS0_14default_configENS1_21merge_config_selectorIiNS0_10empty_typeEEEZNS1_10merge_implIS3_N6thrust23THRUST_200600_302600_NS6detail15normal_iteratorINS9_10device_ptrIKiEEEESF_NSB_INSC_IiEEEEPS5_SI_SI_NS9_4lessIiEEEE10hipError_tPvRmT0_T1_T2_T3_T4_T5_mmT6_P12ihipStream_tbEUlT_E0_NS1_11comp_targetILNS1_3genE5ELNS1_11target_archE942ELNS1_3gpuE9ELNS1_3repE0EEENS1_30default_config_static_selectorELNS0_4arch9wavefront6targetE0EEEvSP_
	.globl	_ZN7rocprim17ROCPRIM_400000_NS6detail17trampoline_kernelINS0_14default_configENS1_21merge_config_selectorIiNS0_10empty_typeEEEZNS1_10merge_implIS3_N6thrust23THRUST_200600_302600_NS6detail15normal_iteratorINS9_10device_ptrIKiEEEESF_NSB_INSC_IiEEEEPS5_SI_SI_NS9_4lessIiEEEE10hipError_tPvRmT0_T1_T2_T3_T4_T5_mmT6_P12ihipStream_tbEUlT_E0_NS1_11comp_targetILNS1_3genE5ELNS1_11target_archE942ELNS1_3gpuE9ELNS1_3repE0EEENS1_30default_config_static_selectorELNS0_4arch9wavefront6targetE0EEEvSP_
	.p2align	8
	.type	_ZN7rocprim17ROCPRIM_400000_NS6detail17trampoline_kernelINS0_14default_configENS1_21merge_config_selectorIiNS0_10empty_typeEEEZNS1_10merge_implIS3_N6thrust23THRUST_200600_302600_NS6detail15normal_iteratorINS9_10device_ptrIKiEEEESF_NSB_INSC_IiEEEEPS5_SI_SI_NS9_4lessIiEEEE10hipError_tPvRmT0_T1_T2_T3_T4_T5_mmT6_P12ihipStream_tbEUlT_E0_NS1_11comp_targetILNS1_3genE5ELNS1_11target_archE942ELNS1_3gpuE9ELNS1_3repE0EEENS1_30default_config_static_selectorELNS0_4arch9wavefront6targetE0EEEvSP_,@function
_ZN7rocprim17ROCPRIM_400000_NS6detail17trampoline_kernelINS0_14default_configENS1_21merge_config_selectorIiNS0_10empty_typeEEEZNS1_10merge_implIS3_N6thrust23THRUST_200600_302600_NS6detail15normal_iteratorINS9_10device_ptrIKiEEEESF_NSB_INSC_IiEEEEPS5_SI_SI_NS9_4lessIiEEEE10hipError_tPvRmT0_T1_T2_T3_T4_T5_mmT6_P12ihipStream_tbEUlT_E0_NS1_11comp_targetILNS1_3genE5ELNS1_11target_archE942ELNS1_3gpuE9ELNS1_3repE0EEENS1_30default_config_static_selectorELNS0_4arch9wavefront6targetE0EEEvSP_: ; @_ZN7rocprim17ROCPRIM_400000_NS6detail17trampoline_kernelINS0_14default_configENS1_21merge_config_selectorIiNS0_10empty_typeEEEZNS1_10merge_implIS3_N6thrust23THRUST_200600_302600_NS6detail15normal_iteratorINS9_10device_ptrIKiEEEESF_NSB_INSC_IiEEEEPS5_SI_SI_NS9_4lessIiEEEE10hipError_tPvRmT0_T1_T2_T3_T4_T5_mmT6_P12ihipStream_tbEUlT_E0_NS1_11comp_targetILNS1_3genE5ELNS1_11target_archE942ELNS1_3gpuE9ELNS1_3repE0EEENS1_30default_config_static_selectorELNS0_4arch9wavefront6targetE0EEEvSP_
; %bb.0:
	.section	.rodata,"a",@progbits
	.p2align	6, 0x0
	.amdhsa_kernel _ZN7rocprim17ROCPRIM_400000_NS6detail17trampoline_kernelINS0_14default_configENS1_21merge_config_selectorIiNS0_10empty_typeEEEZNS1_10merge_implIS3_N6thrust23THRUST_200600_302600_NS6detail15normal_iteratorINS9_10device_ptrIKiEEEESF_NSB_INSC_IiEEEEPS5_SI_SI_NS9_4lessIiEEEE10hipError_tPvRmT0_T1_T2_T3_T4_T5_mmT6_P12ihipStream_tbEUlT_E0_NS1_11comp_targetILNS1_3genE5ELNS1_11target_archE942ELNS1_3gpuE9ELNS1_3repE0EEENS1_30default_config_static_selectorELNS0_4arch9wavefront6targetE0EEEvSP_
		.amdhsa_group_segment_fixed_size 0
		.amdhsa_private_segment_fixed_size 0
		.amdhsa_kernarg_size 88
		.amdhsa_user_sgpr_count 6
		.amdhsa_user_sgpr_private_segment_buffer 1
		.amdhsa_user_sgpr_dispatch_ptr 0
		.amdhsa_user_sgpr_queue_ptr 0
		.amdhsa_user_sgpr_kernarg_segment_ptr 1
		.amdhsa_user_sgpr_dispatch_id 0
		.amdhsa_user_sgpr_flat_scratch_init 0
		.amdhsa_user_sgpr_private_segment_size 0
		.amdhsa_wavefront_size32 1
		.amdhsa_uses_dynamic_stack 0
		.amdhsa_system_sgpr_private_segment_wavefront_offset 0
		.amdhsa_system_sgpr_workgroup_id_x 1
		.amdhsa_system_sgpr_workgroup_id_y 0
		.amdhsa_system_sgpr_workgroup_id_z 0
		.amdhsa_system_sgpr_workgroup_info 0
		.amdhsa_system_vgpr_workitem_id 0
		.amdhsa_next_free_vgpr 1
		.amdhsa_next_free_sgpr 1
		.amdhsa_reserve_vcc 0
		.amdhsa_reserve_flat_scratch 0
		.amdhsa_float_round_mode_32 0
		.amdhsa_float_round_mode_16_64 0
		.amdhsa_float_denorm_mode_32 3
		.amdhsa_float_denorm_mode_16_64 3
		.amdhsa_dx10_clamp 1
		.amdhsa_ieee_mode 1
		.amdhsa_fp16_overflow 0
		.amdhsa_workgroup_processor_mode 1
		.amdhsa_memory_ordered 1
		.amdhsa_forward_progress 1
		.amdhsa_shared_vgpr_count 0
		.amdhsa_exception_fp_ieee_invalid_op 0
		.amdhsa_exception_fp_denorm_src 0
		.amdhsa_exception_fp_ieee_div_zero 0
		.amdhsa_exception_fp_ieee_overflow 0
		.amdhsa_exception_fp_ieee_underflow 0
		.amdhsa_exception_fp_ieee_inexact 0
		.amdhsa_exception_int_div_zero 0
	.end_amdhsa_kernel
	.section	.text._ZN7rocprim17ROCPRIM_400000_NS6detail17trampoline_kernelINS0_14default_configENS1_21merge_config_selectorIiNS0_10empty_typeEEEZNS1_10merge_implIS3_N6thrust23THRUST_200600_302600_NS6detail15normal_iteratorINS9_10device_ptrIKiEEEESF_NSB_INSC_IiEEEEPS5_SI_SI_NS9_4lessIiEEEE10hipError_tPvRmT0_T1_T2_T3_T4_T5_mmT6_P12ihipStream_tbEUlT_E0_NS1_11comp_targetILNS1_3genE5ELNS1_11target_archE942ELNS1_3gpuE9ELNS1_3repE0EEENS1_30default_config_static_selectorELNS0_4arch9wavefront6targetE0EEEvSP_,"axG",@progbits,_ZN7rocprim17ROCPRIM_400000_NS6detail17trampoline_kernelINS0_14default_configENS1_21merge_config_selectorIiNS0_10empty_typeEEEZNS1_10merge_implIS3_N6thrust23THRUST_200600_302600_NS6detail15normal_iteratorINS9_10device_ptrIKiEEEESF_NSB_INSC_IiEEEEPS5_SI_SI_NS9_4lessIiEEEE10hipError_tPvRmT0_T1_T2_T3_T4_T5_mmT6_P12ihipStream_tbEUlT_E0_NS1_11comp_targetILNS1_3genE5ELNS1_11target_archE942ELNS1_3gpuE9ELNS1_3repE0EEENS1_30default_config_static_selectorELNS0_4arch9wavefront6targetE0EEEvSP_,comdat
.Lfunc_end11:
	.size	_ZN7rocprim17ROCPRIM_400000_NS6detail17trampoline_kernelINS0_14default_configENS1_21merge_config_selectorIiNS0_10empty_typeEEEZNS1_10merge_implIS3_N6thrust23THRUST_200600_302600_NS6detail15normal_iteratorINS9_10device_ptrIKiEEEESF_NSB_INSC_IiEEEEPS5_SI_SI_NS9_4lessIiEEEE10hipError_tPvRmT0_T1_T2_T3_T4_T5_mmT6_P12ihipStream_tbEUlT_E0_NS1_11comp_targetILNS1_3genE5ELNS1_11target_archE942ELNS1_3gpuE9ELNS1_3repE0EEENS1_30default_config_static_selectorELNS0_4arch9wavefront6targetE0EEEvSP_, .Lfunc_end11-_ZN7rocprim17ROCPRIM_400000_NS6detail17trampoline_kernelINS0_14default_configENS1_21merge_config_selectorIiNS0_10empty_typeEEEZNS1_10merge_implIS3_N6thrust23THRUST_200600_302600_NS6detail15normal_iteratorINS9_10device_ptrIKiEEEESF_NSB_INSC_IiEEEEPS5_SI_SI_NS9_4lessIiEEEE10hipError_tPvRmT0_T1_T2_T3_T4_T5_mmT6_P12ihipStream_tbEUlT_E0_NS1_11comp_targetILNS1_3genE5ELNS1_11target_archE942ELNS1_3gpuE9ELNS1_3repE0EEENS1_30default_config_static_selectorELNS0_4arch9wavefront6targetE0EEEvSP_
                                        ; -- End function
	.set _ZN7rocprim17ROCPRIM_400000_NS6detail17trampoline_kernelINS0_14default_configENS1_21merge_config_selectorIiNS0_10empty_typeEEEZNS1_10merge_implIS3_N6thrust23THRUST_200600_302600_NS6detail15normal_iteratorINS9_10device_ptrIKiEEEESF_NSB_INSC_IiEEEEPS5_SI_SI_NS9_4lessIiEEEE10hipError_tPvRmT0_T1_T2_T3_T4_T5_mmT6_P12ihipStream_tbEUlT_E0_NS1_11comp_targetILNS1_3genE5ELNS1_11target_archE942ELNS1_3gpuE9ELNS1_3repE0EEENS1_30default_config_static_selectorELNS0_4arch9wavefront6targetE0EEEvSP_.num_vgpr, 0
	.set _ZN7rocprim17ROCPRIM_400000_NS6detail17trampoline_kernelINS0_14default_configENS1_21merge_config_selectorIiNS0_10empty_typeEEEZNS1_10merge_implIS3_N6thrust23THRUST_200600_302600_NS6detail15normal_iteratorINS9_10device_ptrIKiEEEESF_NSB_INSC_IiEEEEPS5_SI_SI_NS9_4lessIiEEEE10hipError_tPvRmT0_T1_T2_T3_T4_T5_mmT6_P12ihipStream_tbEUlT_E0_NS1_11comp_targetILNS1_3genE5ELNS1_11target_archE942ELNS1_3gpuE9ELNS1_3repE0EEENS1_30default_config_static_selectorELNS0_4arch9wavefront6targetE0EEEvSP_.num_agpr, 0
	.set _ZN7rocprim17ROCPRIM_400000_NS6detail17trampoline_kernelINS0_14default_configENS1_21merge_config_selectorIiNS0_10empty_typeEEEZNS1_10merge_implIS3_N6thrust23THRUST_200600_302600_NS6detail15normal_iteratorINS9_10device_ptrIKiEEEESF_NSB_INSC_IiEEEEPS5_SI_SI_NS9_4lessIiEEEE10hipError_tPvRmT0_T1_T2_T3_T4_T5_mmT6_P12ihipStream_tbEUlT_E0_NS1_11comp_targetILNS1_3genE5ELNS1_11target_archE942ELNS1_3gpuE9ELNS1_3repE0EEENS1_30default_config_static_selectorELNS0_4arch9wavefront6targetE0EEEvSP_.numbered_sgpr, 0
	.set _ZN7rocprim17ROCPRIM_400000_NS6detail17trampoline_kernelINS0_14default_configENS1_21merge_config_selectorIiNS0_10empty_typeEEEZNS1_10merge_implIS3_N6thrust23THRUST_200600_302600_NS6detail15normal_iteratorINS9_10device_ptrIKiEEEESF_NSB_INSC_IiEEEEPS5_SI_SI_NS9_4lessIiEEEE10hipError_tPvRmT0_T1_T2_T3_T4_T5_mmT6_P12ihipStream_tbEUlT_E0_NS1_11comp_targetILNS1_3genE5ELNS1_11target_archE942ELNS1_3gpuE9ELNS1_3repE0EEENS1_30default_config_static_selectorELNS0_4arch9wavefront6targetE0EEEvSP_.num_named_barrier, 0
	.set _ZN7rocprim17ROCPRIM_400000_NS6detail17trampoline_kernelINS0_14default_configENS1_21merge_config_selectorIiNS0_10empty_typeEEEZNS1_10merge_implIS3_N6thrust23THRUST_200600_302600_NS6detail15normal_iteratorINS9_10device_ptrIKiEEEESF_NSB_INSC_IiEEEEPS5_SI_SI_NS9_4lessIiEEEE10hipError_tPvRmT0_T1_T2_T3_T4_T5_mmT6_P12ihipStream_tbEUlT_E0_NS1_11comp_targetILNS1_3genE5ELNS1_11target_archE942ELNS1_3gpuE9ELNS1_3repE0EEENS1_30default_config_static_selectorELNS0_4arch9wavefront6targetE0EEEvSP_.private_seg_size, 0
	.set _ZN7rocprim17ROCPRIM_400000_NS6detail17trampoline_kernelINS0_14default_configENS1_21merge_config_selectorIiNS0_10empty_typeEEEZNS1_10merge_implIS3_N6thrust23THRUST_200600_302600_NS6detail15normal_iteratorINS9_10device_ptrIKiEEEESF_NSB_INSC_IiEEEEPS5_SI_SI_NS9_4lessIiEEEE10hipError_tPvRmT0_T1_T2_T3_T4_T5_mmT6_P12ihipStream_tbEUlT_E0_NS1_11comp_targetILNS1_3genE5ELNS1_11target_archE942ELNS1_3gpuE9ELNS1_3repE0EEENS1_30default_config_static_selectorELNS0_4arch9wavefront6targetE0EEEvSP_.uses_vcc, 0
	.set _ZN7rocprim17ROCPRIM_400000_NS6detail17trampoline_kernelINS0_14default_configENS1_21merge_config_selectorIiNS0_10empty_typeEEEZNS1_10merge_implIS3_N6thrust23THRUST_200600_302600_NS6detail15normal_iteratorINS9_10device_ptrIKiEEEESF_NSB_INSC_IiEEEEPS5_SI_SI_NS9_4lessIiEEEE10hipError_tPvRmT0_T1_T2_T3_T4_T5_mmT6_P12ihipStream_tbEUlT_E0_NS1_11comp_targetILNS1_3genE5ELNS1_11target_archE942ELNS1_3gpuE9ELNS1_3repE0EEENS1_30default_config_static_selectorELNS0_4arch9wavefront6targetE0EEEvSP_.uses_flat_scratch, 0
	.set _ZN7rocprim17ROCPRIM_400000_NS6detail17trampoline_kernelINS0_14default_configENS1_21merge_config_selectorIiNS0_10empty_typeEEEZNS1_10merge_implIS3_N6thrust23THRUST_200600_302600_NS6detail15normal_iteratorINS9_10device_ptrIKiEEEESF_NSB_INSC_IiEEEEPS5_SI_SI_NS9_4lessIiEEEE10hipError_tPvRmT0_T1_T2_T3_T4_T5_mmT6_P12ihipStream_tbEUlT_E0_NS1_11comp_targetILNS1_3genE5ELNS1_11target_archE942ELNS1_3gpuE9ELNS1_3repE0EEENS1_30default_config_static_selectorELNS0_4arch9wavefront6targetE0EEEvSP_.has_dyn_sized_stack, 0
	.set _ZN7rocprim17ROCPRIM_400000_NS6detail17trampoline_kernelINS0_14default_configENS1_21merge_config_selectorIiNS0_10empty_typeEEEZNS1_10merge_implIS3_N6thrust23THRUST_200600_302600_NS6detail15normal_iteratorINS9_10device_ptrIKiEEEESF_NSB_INSC_IiEEEEPS5_SI_SI_NS9_4lessIiEEEE10hipError_tPvRmT0_T1_T2_T3_T4_T5_mmT6_P12ihipStream_tbEUlT_E0_NS1_11comp_targetILNS1_3genE5ELNS1_11target_archE942ELNS1_3gpuE9ELNS1_3repE0EEENS1_30default_config_static_selectorELNS0_4arch9wavefront6targetE0EEEvSP_.has_recursion, 0
	.set _ZN7rocprim17ROCPRIM_400000_NS6detail17trampoline_kernelINS0_14default_configENS1_21merge_config_selectorIiNS0_10empty_typeEEEZNS1_10merge_implIS3_N6thrust23THRUST_200600_302600_NS6detail15normal_iteratorINS9_10device_ptrIKiEEEESF_NSB_INSC_IiEEEEPS5_SI_SI_NS9_4lessIiEEEE10hipError_tPvRmT0_T1_T2_T3_T4_T5_mmT6_P12ihipStream_tbEUlT_E0_NS1_11comp_targetILNS1_3genE5ELNS1_11target_archE942ELNS1_3gpuE9ELNS1_3repE0EEENS1_30default_config_static_selectorELNS0_4arch9wavefront6targetE0EEEvSP_.has_indirect_call, 0
	.section	.AMDGPU.csdata,"",@progbits
; Kernel info:
; codeLenInByte = 0
; TotalNumSgprs: 0
; NumVgprs: 0
; ScratchSize: 0
; MemoryBound: 0
; FloatMode: 240
; IeeeMode: 1
; LDSByteSize: 0 bytes/workgroup (compile time only)
; SGPRBlocks: 0
; VGPRBlocks: 0
; NumSGPRsForWavesPerEU: 1
; NumVGPRsForWavesPerEU: 1
; Occupancy: 16
; WaveLimiterHint : 0
; COMPUTE_PGM_RSRC2:SCRATCH_EN: 0
; COMPUTE_PGM_RSRC2:USER_SGPR: 6
; COMPUTE_PGM_RSRC2:TRAP_HANDLER: 0
; COMPUTE_PGM_RSRC2:TGID_X_EN: 1
; COMPUTE_PGM_RSRC2:TGID_Y_EN: 0
; COMPUTE_PGM_RSRC2:TGID_Z_EN: 0
; COMPUTE_PGM_RSRC2:TIDIG_COMP_CNT: 0
	.section	.text._ZN7rocprim17ROCPRIM_400000_NS6detail17trampoline_kernelINS0_14default_configENS1_21merge_config_selectorIiNS0_10empty_typeEEEZNS1_10merge_implIS3_N6thrust23THRUST_200600_302600_NS6detail15normal_iteratorINS9_10device_ptrIKiEEEESF_NSB_INSC_IiEEEEPS5_SI_SI_NS9_4lessIiEEEE10hipError_tPvRmT0_T1_T2_T3_T4_T5_mmT6_P12ihipStream_tbEUlT_E0_NS1_11comp_targetILNS1_3genE4ELNS1_11target_archE910ELNS1_3gpuE8ELNS1_3repE0EEENS1_30default_config_static_selectorELNS0_4arch9wavefront6targetE0EEEvSP_,"axG",@progbits,_ZN7rocprim17ROCPRIM_400000_NS6detail17trampoline_kernelINS0_14default_configENS1_21merge_config_selectorIiNS0_10empty_typeEEEZNS1_10merge_implIS3_N6thrust23THRUST_200600_302600_NS6detail15normal_iteratorINS9_10device_ptrIKiEEEESF_NSB_INSC_IiEEEEPS5_SI_SI_NS9_4lessIiEEEE10hipError_tPvRmT0_T1_T2_T3_T4_T5_mmT6_P12ihipStream_tbEUlT_E0_NS1_11comp_targetILNS1_3genE4ELNS1_11target_archE910ELNS1_3gpuE8ELNS1_3repE0EEENS1_30default_config_static_selectorELNS0_4arch9wavefront6targetE0EEEvSP_,comdat
	.protected	_ZN7rocprim17ROCPRIM_400000_NS6detail17trampoline_kernelINS0_14default_configENS1_21merge_config_selectorIiNS0_10empty_typeEEEZNS1_10merge_implIS3_N6thrust23THRUST_200600_302600_NS6detail15normal_iteratorINS9_10device_ptrIKiEEEESF_NSB_INSC_IiEEEEPS5_SI_SI_NS9_4lessIiEEEE10hipError_tPvRmT0_T1_T2_T3_T4_T5_mmT6_P12ihipStream_tbEUlT_E0_NS1_11comp_targetILNS1_3genE4ELNS1_11target_archE910ELNS1_3gpuE8ELNS1_3repE0EEENS1_30default_config_static_selectorELNS0_4arch9wavefront6targetE0EEEvSP_ ; -- Begin function _ZN7rocprim17ROCPRIM_400000_NS6detail17trampoline_kernelINS0_14default_configENS1_21merge_config_selectorIiNS0_10empty_typeEEEZNS1_10merge_implIS3_N6thrust23THRUST_200600_302600_NS6detail15normal_iteratorINS9_10device_ptrIKiEEEESF_NSB_INSC_IiEEEEPS5_SI_SI_NS9_4lessIiEEEE10hipError_tPvRmT0_T1_T2_T3_T4_T5_mmT6_P12ihipStream_tbEUlT_E0_NS1_11comp_targetILNS1_3genE4ELNS1_11target_archE910ELNS1_3gpuE8ELNS1_3repE0EEENS1_30default_config_static_selectorELNS0_4arch9wavefront6targetE0EEEvSP_
	.globl	_ZN7rocprim17ROCPRIM_400000_NS6detail17trampoline_kernelINS0_14default_configENS1_21merge_config_selectorIiNS0_10empty_typeEEEZNS1_10merge_implIS3_N6thrust23THRUST_200600_302600_NS6detail15normal_iteratorINS9_10device_ptrIKiEEEESF_NSB_INSC_IiEEEEPS5_SI_SI_NS9_4lessIiEEEE10hipError_tPvRmT0_T1_T2_T3_T4_T5_mmT6_P12ihipStream_tbEUlT_E0_NS1_11comp_targetILNS1_3genE4ELNS1_11target_archE910ELNS1_3gpuE8ELNS1_3repE0EEENS1_30default_config_static_selectorELNS0_4arch9wavefront6targetE0EEEvSP_
	.p2align	8
	.type	_ZN7rocprim17ROCPRIM_400000_NS6detail17trampoline_kernelINS0_14default_configENS1_21merge_config_selectorIiNS0_10empty_typeEEEZNS1_10merge_implIS3_N6thrust23THRUST_200600_302600_NS6detail15normal_iteratorINS9_10device_ptrIKiEEEESF_NSB_INSC_IiEEEEPS5_SI_SI_NS9_4lessIiEEEE10hipError_tPvRmT0_T1_T2_T3_T4_T5_mmT6_P12ihipStream_tbEUlT_E0_NS1_11comp_targetILNS1_3genE4ELNS1_11target_archE910ELNS1_3gpuE8ELNS1_3repE0EEENS1_30default_config_static_selectorELNS0_4arch9wavefront6targetE0EEEvSP_,@function
_ZN7rocprim17ROCPRIM_400000_NS6detail17trampoline_kernelINS0_14default_configENS1_21merge_config_selectorIiNS0_10empty_typeEEEZNS1_10merge_implIS3_N6thrust23THRUST_200600_302600_NS6detail15normal_iteratorINS9_10device_ptrIKiEEEESF_NSB_INSC_IiEEEEPS5_SI_SI_NS9_4lessIiEEEE10hipError_tPvRmT0_T1_T2_T3_T4_T5_mmT6_P12ihipStream_tbEUlT_E0_NS1_11comp_targetILNS1_3genE4ELNS1_11target_archE910ELNS1_3gpuE8ELNS1_3repE0EEENS1_30default_config_static_selectorELNS0_4arch9wavefront6targetE0EEEvSP_: ; @_ZN7rocprim17ROCPRIM_400000_NS6detail17trampoline_kernelINS0_14default_configENS1_21merge_config_selectorIiNS0_10empty_typeEEEZNS1_10merge_implIS3_N6thrust23THRUST_200600_302600_NS6detail15normal_iteratorINS9_10device_ptrIKiEEEESF_NSB_INSC_IiEEEEPS5_SI_SI_NS9_4lessIiEEEE10hipError_tPvRmT0_T1_T2_T3_T4_T5_mmT6_P12ihipStream_tbEUlT_E0_NS1_11comp_targetILNS1_3genE4ELNS1_11target_archE910ELNS1_3gpuE8ELNS1_3repE0EEENS1_30default_config_static_selectorELNS0_4arch9wavefront6targetE0EEEvSP_
; %bb.0:
	.section	.rodata,"a",@progbits
	.p2align	6, 0x0
	.amdhsa_kernel _ZN7rocprim17ROCPRIM_400000_NS6detail17trampoline_kernelINS0_14default_configENS1_21merge_config_selectorIiNS0_10empty_typeEEEZNS1_10merge_implIS3_N6thrust23THRUST_200600_302600_NS6detail15normal_iteratorINS9_10device_ptrIKiEEEESF_NSB_INSC_IiEEEEPS5_SI_SI_NS9_4lessIiEEEE10hipError_tPvRmT0_T1_T2_T3_T4_T5_mmT6_P12ihipStream_tbEUlT_E0_NS1_11comp_targetILNS1_3genE4ELNS1_11target_archE910ELNS1_3gpuE8ELNS1_3repE0EEENS1_30default_config_static_selectorELNS0_4arch9wavefront6targetE0EEEvSP_
		.amdhsa_group_segment_fixed_size 0
		.amdhsa_private_segment_fixed_size 0
		.amdhsa_kernarg_size 88
		.amdhsa_user_sgpr_count 6
		.amdhsa_user_sgpr_private_segment_buffer 1
		.amdhsa_user_sgpr_dispatch_ptr 0
		.amdhsa_user_sgpr_queue_ptr 0
		.amdhsa_user_sgpr_kernarg_segment_ptr 1
		.amdhsa_user_sgpr_dispatch_id 0
		.amdhsa_user_sgpr_flat_scratch_init 0
		.amdhsa_user_sgpr_private_segment_size 0
		.amdhsa_wavefront_size32 1
		.amdhsa_uses_dynamic_stack 0
		.amdhsa_system_sgpr_private_segment_wavefront_offset 0
		.amdhsa_system_sgpr_workgroup_id_x 1
		.amdhsa_system_sgpr_workgroup_id_y 0
		.amdhsa_system_sgpr_workgroup_id_z 0
		.amdhsa_system_sgpr_workgroup_info 0
		.amdhsa_system_vgpr_workitem_id 0
		.amdhsa_next_free_vgpr 1
		.amdhsa_next_free_sgpr 1
		.amdhsa_reserve_vcc 0
		.amdhsa_reserve_flat_scratch 0
		.amdhsa_float_round_mode_32 0
		.amdhsa_float_round_mode_16_64 0
		.amdhsa_float_denorm_mode_32 3
		.amdhsa_float_denorm_mode_16_64 3
		.amdhsa_dx10_clamp 1
		.amdhsa_ieee_mode 1
		.amdhsa_fp16_overflow 0
		.amdhsa_workgroup_processor_mode 1
		.amdhsa_memory_ordered 1
		.amdhsa_forward_progress 1
		.amdhsa_shared_vgpr_count 0
		.amdhsa_exception_fp_ieee_invalid_op 0
		.amdhsa_exception_fp_denorm_src 0
		.amdhsa_exception_fp_ieee_div_zero 0
		.amdhsa_exception_fp_ieee_overflow 0
		.amdhsa_exception_fp_ieee_underflow 0
		.amdhsa_exception_fp_ieee_inexact 0
		.amdhsa_exception_int_div_zero 0
	.end_amdhsa_kernel
	.section	.text._ZN7rocprim17ROCPRIM_400000_NS6detail17trampoline_kernelINS0_14default_configENS1_21merge_config_selectorIiNS0_10empty_typeEEEZNS1_10merge_implIS3_N6thrust23THRUST_200600_302600_NS6detail15normal_iteratorINS9_10device_ptrIKiEEEESF_NSB_INSC_IiEEEEPS5_SI_SI_NS9_4lessIiEEEE10hipError_tPvRmT0_T1_T2_T3_T4_T5_mmT6_P12ihipStream_tbEUlT_E0_NS1_11comp_targetILNS1_3genE4ELNS1_11target_archE910ELNS1_3gpuE8ELNS1_3repE0EEENS1_30default_config_static_selectorELNS0_4arch9wavefront6targetE0EEEvSP_,"axG",@progbits,_ZN7rocprim17ROCPRIM_400000_NS6detail17trampoline_kernelINS0_14default_configENS1_21merge_config_selectorIiNS0_10empty_typeEEEZNS1_10merge_implIS3_N6thrust23THRUST_200600_302600_NS6detail15normal_iteratorINS9_10device_ptrIKiEEEESF_NSB_INSC_IiEEEEPS5_SI_SI_NS9_4lessIiEEEE10hipError_tPvRmT0_T1_T2_T3_T4_T5_mmT6_P12ihipStream_tbEUlT_E0_NS1_11comp_targetILNS1_3genE4ELNS1_11target_archE910ELNS1_3gpuE8ELNS1_3repE0EEENS1_30default_config_static_selectorELNS0_4arch9wavefront6targetE0EEEvSP_,comdat
.Lfunc_end12:
	.size	_ZN7rocprim17ROCPRIM_400000_NS6detail17trampoline_kernelINS0_14default_configENS1_21merge_config_selectorIiNS0_10empty_typeEEEZNS1_10merge_implIS3_N6thrust23THRUST_200600_302600_NS6detail15normal_iteratorINS9_10device_ptrIKiEEEESF_NSB_INSC_IiEEEEPS5_SI_SI_NS9_4lessIiEEEE10hipError_tPvRmT0_T1_T2_T3_T4_T5_mmT6_P12ihipStream_tbEUlT_E0_NS1_11comp_targetILNS1_3genE4ELNS1_11target_archE910ELNS1_3gpuE8ELNS1_3repE0EEENS1_30default_config_static_selectorELNS0_4arch9wavefront6targetE0EEEvSP_, .Lfunc_end12-_ZN7rocprim17ROCPRIM_400000_NS6detail17trampoline_kernelINS0_14default_configENS1_21merge_config_selectorIiNS0_10empty_typeEEEZNS1_10merge_implIS3_N6thrust23THRUST_200600_302600_NS6detail15normal_iteratorINS9_10device_ptrIKiEEEESF_NSB_INSC_IiEEEEPS5_SI_SI_NS9_4lessIiEEEE10hipError_tPvRmT0_T1_T2_T3_T4_T5_mmT6_P12ihipStream_tbEUlT_E0_NS1_11comp_targetILNS1_3genE4ELNS1_11target_archE910ELNS1_3gpuE8ELNS1_3repE0EEENS1_30default_config_static_selectorELNS0_4arch9wavefront6targetE0EEEvSP_
                                        ; -- End function
	.set _ZN7rocprim17ROCPRIM_400000_NS6detail17trampoline_kernelINS0_14default_configENS1_21merge_config_selectorIiNS0_10empty_typeEEEZNS1_10merge_implIS3_N6thrust23THRUST_200600_302600_NS6detail15normal_iteratorINS9_10device_ptrIKiEEEESF_NSB_INSC_IiEEEEPS5_SI_SI_NS9_4lessIiEEEE10hipError_tPvRmT0_T1_T2_T3_T4_T5_mmT6_P12ihipStream_tbEUlT_E0_NS1_11comp_targetILNS1_3genE4ELNS1_11target_archE910ELNS1_3gpuE8ELNS1_3repE0EEENS1_30default_config_static_selectorELNS0_4arch9wavefront6targetE0EEEvSP_.num_vgpr, 0
	.set _ZN7rocprim17ROCPRIM_400000_NS6detail17trampoline_kernelINS0_14default_configENS1_21merge_config_selectorIiNS0_10empty_typeEEEZNS1_10merge_implIS3_N6thrust23THRUST_200600_302600_NS6detail15normal_iteratorINS9_10device_ptrIKiEEEESF_NSB_INSC_IiEEEEPS5_SI_SI_NS9_4lessIiEEEE10hipError_tPvRmT0_T1_T2_T3_T4_T5_mmT6_P12ihipStream_tbEUlT_E0_NS1_11comp_targetILNS1_3genE4ELNS1_11target_archE910ELNS1_3gpuE8ELNS1_3repE0EEENS1_30default_config_static_selectorELNS0_4arch9wavefront6targetE0EEEvSP_.num_agpr, 0
	.set _ZN7rocprim17ROCPRIM_400000_NS6detail17trampoline_kernelINS0_14default_configENS1_21merge_config_selectorIiNS0_10empty_typeEEEZNS1_10merge_implIS3_N6thrust23THRUST_200600_302600_NS6detail15normal_iteratorINS9_10device_ptrIKiEEEESF_NSB_INSC_IiEEEEPS5_SI_SI_NS9_4lessIiEEEE10hipError_tPvRmT0_T1_T2_T3_T4_T5_mmT6_P12ihipStream_tbEUlT_E0_NS1_11comp_targetILNS1_3genE4ELNS1_11target_archE910ELNS1_3gpuE8ELNS1_3repE0EEENS1_30default_config_static_selectorELNS0_4arch9wavefront6targetE0EEEvSP_.numbered_sgpr, 0
	.set _ZN7rocprim17ROCPRIM_400000_NS6detail17trampoline_kernelINS0_14default_configENS1_21merge_config_selectorIiNS0_10empty_typeEEEZNS1_10merge_implIS3_N6thrust23THRUST_200600_302600_NS6detail15normal_iteratorINS9_10device_ptrIKiEEEESF_NSB_INSC_IiEEEEPS5_SI_SI_NS9_4lessIiEEEE10hipError_tPvRmT0_T1_T2_T3_T4_T5_mmT6_P12ihipStream_tbEUlT_E0_NS1_11comp_targetILNS1_3genE4ELNS1_11target_archE910ELNS1_3gpuE8ELNS1_3repE0EEENS1_30default_config_static_selectorELNS0_4arch9wavefront6targetE0EEEvSP_.num_named_barrier, 0
	.set _ZN7rocprim17ROCPRIM_400000_NS6detail17trampoline_kernelINS0_14default_configENS1_21merge_config_selectorIiNS0_10empty_typeEEEZNS1_10merge_implIS3_N6thrust23THRUST_200600_302600_NS6detail15normal_iteratorINS9_10device_ptrIKiEEEESF_NSB_INSC_IiEEEEPS5_SI_SI_NS9_4lessIiEEEE10hipError_tPvRmT0_T1_T2_T3_T4_T5_mmT6_P12ihipStream_tbEUlT_E0_NS1_11comp_targetILNS1_3genE4ELNS1_11target_archE910ELNS1_3gpuE8ELNS1_3repE0EEENS1_30default_config_static_selectorELNS0_4arch9wavefront6targetE0EEEvSP_.private_seg_size, 0
	.set _ZN7rocprim17ROCPRIM_400000_NS6detail17trampoline_kernelINS0_14default_configENS1_21merge_config_selectorIiNS0_10empty_typeEEEZNS1_10merge_implIS3_N6thrust23THRUST_200600_302600_NS6detail15normal_iteratorINS9_10device_ptrIKiEEEESF_NSB_INSC_IiEEEEPS5_SI_SI_NS9_4lessIiEEEE10hipError_tPvRmT0_T1_T2_T3_T4_T5_mmT6_P12ihipStream_tbEUlT_E0_NS1_11comp_targetILNS1_3genE4ELNS1_11target_archE910ELNS1_3gpuE8ELNS1_3repE0EEENS1_30default_config_static_selectorELNS0_4arch9wavefront6targetE0EEEvSP_.uses_vcc, 0
	.set _ZN7rocprim17ROCPRIM_400000_NS6detail17trampoline_kernelINS0_14default_configENS1_21merge_config_selectorIiNS0_10empty_typeEEEZNS1_10merge_implIS3_N6thrust23THRUST_200600_302600_NS6detail15normal_iteratorINS9_10device_ptrIKiEEEESF_NSB_INSC_IiEEEEPS5_SI_SI_NS9_4lessIiEEEE10hipError_tPvRmT0_T1_T2_T3_T4_T5_mmT6_P12ihipStream_tbEUlT_E0_NS1_11comp_targetILNS1_3genE4ELNS1_11target_archE910ELNS1_3gpuE8ELNS1_3repE0EEENS1_30default_config_static_selectorELNS0_4arch9wavefront6targetE0EEEvSP_.uses_flat_scratch, 0
	.set _ZN7rocprim17ROCPRIM_400000_NS6detail17trampoline_kernelINS0_14default_configENS1_21merge_config_selectorIiNS0_10empty_typeEEEZNS1_10merge_implIS3_N6thrust23THRUST_200600_302600_NS6detail15normal_iteratorINS9_10device_ptrIKiEEEESF_NSB_INSC_IiEEEEPS5_SI_SI_NS9_4lessIiEEEE10hipError_tPvRmT0_T1_T2_T3_T4_T5_mmT6_P12ihipStream_tbEUlT_E0_NS1_11comp_targetILNS1_3genE4ELNS1_11target_archE910ELNS1_3gpuE8ELNS1_3repE0EEENS1_30default_config_static_selectorELNS0_4arch9wavefront6targetE0EEEvSP_.has_dyn_sized_stack, 0
	.set _ZN7rocprim17ROCPRIM_400000_NS6detail17trampoline_kernelINS0_14default_configENS1_21merge_config_selectorIiNS0_10empty_typeEEEZNS1_10merge_implIS3_N6thrust23THRUST_200600_302600_NS6detail15normal_iteratorINS9_10device_ptrIKiEEEESF_NSB_INSC_IiEEEEPS5_SI_SI_NS9_4lessIiEEEE10hipError_tPvRmT0_T1_T2_T3_T4_T5_mmT6_P12ihipStream_tbEUlT_E0_NS1_11comp_targetILNS1_3genE4ELNS1_11target_archE910ELNS1_3gpuE8ELNS1_3repE0EEENS1_30default_config_static_selectorELNS0_4arch9wavefront6targetE0EEEvSP_.has_recursion, 0
	.set _ZN7rocprim17ROCPRIM_400000_NS6detail17trampoline_kernelINS0_14default_configENS1_21merge_config_selectorIiNS0_10empty_typeEEEZNS1_10merge_implIS3_N6thrust23THRUST_200600_302600_NS6detail15normal_iteratorINS9_10device_ptrIKiEEEESF_NSB_INSC_IiEEEEPS5_SI_SI_NS9_4lessIiEEEE10hipError_tPvRmT0_T1_T2_T3_T4_T5_mmT6_P12ihipStream_tbEUlT_E0_NS1_11comp_targetILNS1_3genE4ELNS1_11target_archE910ELNS1_3gpuE8ELNS1_3repE0EEENS1_30default_config_static_selectorELNS0_4arch9wavefront6targetE0EEEvSP_.has_indirect_call, 0
	.section	.AMDGPU.csdata,"",@progbits
; Kernel info:
; codeLenInByte = 0
; TotalNumSgprs: 0
; NumVgprs: 0
; ScratchSize: 0
; MemoryBound: 0
; FloatMode: 240
; IeeeMode: 1
; LDSByteSize: 0 bytes/workgroup (compile time only)
; SGPRBlocks: 0
; VGPRBlocks: 0
; NumSGPRsForWavesPerEU: 1
; NumVGPRsForWavesPerEU: 1
; Occupancy: 16
; WaveLimiterHint : 0
; COMPUTE_PGM_RSRC2:SCRATCH_EN: 0
; COMPUTE_PGM_RSRC2:USER_SGPR: 6
; COMPUTE_PGM_RSRC2:TRAP_HANDLER: 0
; COMPUTE_PGM_RSRC2:TGID_X_EN: 1
; COMPUTE_PGM_RSRC2:TGID_Y_EN: 0
; COMPUTE_PGM_RSRC2:TGID_Z_EN: 0
; COMPUTE_PGM_RSRC2:TIDIG_COMP_CNT: 0
	.section	.text._ZN7rocprim17ROCPRIM_400000_NS6detail17trampoline_kernelINS0_14default_configENS1_21merge_config_selectorIiNS0_10empty_typeEEEZNS1_10merge_implIS3_N6thrust23THRUST_200600_302600_NS6detail15normal_iteratorINS9_10device_ptrIKiEEEESF_NSB_INSC_IiEEEEPS5_SI_SI_NS9_4lessIiEEEE10hipError_tPvRmT0_T1_T2_T3_T4_T5_mmT6_P12ihipStream_tbEUlT_E0_NS1_11comp_targetILNS1_3genE3ELNS1_11target_archE908ELNS1_3gpuE7ELNS1_3repE0EEENS1_30default_config_static_selectorELNS0_4arch9wavefront6targetE0EEEvSP_,"axG",@progbits,_ZN7rocprim17ROCPRIM_400000_NS6detail17trampoline_kernelINS0_14default_configENS1_21merge_config_selectorIiNS0_10empty_typeEEEZNS1_10merge_implIS3_N6thrust23THRUST_200600_302600_NS6detail15normal_iteratorINS9_10device_ptrIKiEEEESF_NSB_INSC_IiEEEEPS5_SI_SI_NS9_4lessIiEEEE10hipError_tPvRmT0_T1_T2_T3_T4_T5_mmT6_P12ihipStream_tbEUlT_E0_NS1_11comp_targetILNS1_3genE3ELNS1_11target_archE908ELNS1_3gpuE7ELNS1_3repE0EEENS1_30default_config_static_selectorELNS0_4arch9wavefront6targetE0EEEvSP_,comdat
	.protected	_ZN7rocprim17ROCPRIM_400000_NS6detail17trampoline_kernelINS0_14default_configENS1_21merge_config_selectorIiNS0_10empty_typeEEEZNS1_10merge_implIS3_N6thrust23THRUST_200600_302600_NS6detail15normal_iteratorINS9_10device_ptrIKiEEEESF_NSB_INSC_IiEEEEPS5_SI_SI_NS9_4lessIiEEEE10hipError_tPvRmT0_T1_T2_T3_T4_T5_mmT6_P12ihipStream_tbEUlT_E0_NS1_11comp_targetILNS1_3genE3ELNS1_11target_archE908ELNS1_3gpuE7ELNS1_3repE0EEENS1_30default_config_static_selectorELNS0_4arch9wavefront6targetE0EEEvSP_ ; -- Begin function _ZN7rocprim17ROCPRIM_400000_NS6detail17trampoline_kernelINS0_14default_configENS1_21merge_config_selectorIiNS0_10empty_typeEEEZNS1_10merge_implIS3_N6thrust23THRUST_200600_302600_NS6detail15normal_iteratorINS9_10device_ptrIKiEEEESF_NSB_INSC_IiEEEEPS5_SI_SI_NS9_4lessIiEEEE10hipError_tPvRmT0_T1_T2_T3_T4_T5_mmT6_P12ihipStream_tbEUlT_E0_NS1_11comp_targetILNS1_3genE3ELNS1_11target_archE908ELNS1_3gpuE7ELNS1_3repE0EEENS1_30default_config_static_selectorELNS0_4arch9wavefront6targetE0EEEvSP_
	.globl	_ZN7rocprim17ROCPRIM_400000_NS6detail17trampoline_kernelINS0_14default_configENS1_21merge_config_selectorIiNS0_10empty_typeEEEZNS1_10merge_implIS3_N6thrust23THRUST_200600_302600_NS6detail15normal_iteratorINS9_10device_ptrIKiEEEESF_NSB_INSC_IiEEEEPS5_SI_SI_NS9_4lessIiEEEE10hipError_tPvRmT0_T1_T2_T3_T4_T5_mmT6_P12ihipStream_tbEUlT_E0_NS1_11comp_targetILNS1_3genE3ELNS1_11target_archE908ELNS1_3gpuE7ELNS1_3repE0EEENS1_30default_config_static_selectorELNS0_4arch9wavefront6targetE0EEEvSP_
	.p2align	8
	.type	_ZN7rocprim17ROCPRIM_400000_NS6detail17trampoline_kernelINS0_14default_configENS1_21merge_config_selectorIiNS0_10empty_typeEEEZNS1_10merge_implIS3_N6thrust23THRUST_200600_302600_NS6detail15normal_iteratorINS9_10device_ptrIKiEEEESF_NSB_INSC_IiEEEEPS5_SI_SI_NS9_4lessIiEEEE10hipError_tPvRmT0_T1_T2_T3_T4_T5_mmT6_P12ihipStream_tbEUlT_E0_NS1_11comp_targetILNS1_3genE3ELNS1_11target_archE908ELNS1_3gpuE7ELNS1_3repE0EEENS1_30default_config_static_selectorELNS0_4arch9wavefront6targetE0EEEvSP_,@function
_ZN7rocprim17ROCPRIM_400000_NS6detail17trampoline_kernelINS0_14default_configENS1_21merge_config_selectorIiNS0_10empty_typeEEEZNS1_10merge_implIS3_N6thrust23THRUST_200600_302600_NS6detail15normal_iteratorINS9_10device_ptrIKiEEEESF_NSB_INSC_IiEEEEPS5_SI_SI_NS9_4lessIiEEEE10hipError_tPvRmT0_T1_T2_T3_T4_T5_mmT6_P12ihipStream_tbEUlT_E0_NS1_11comp_targetILNS1_3genE3ELNS1_11target_archE908ELNS1_3gpuE7ELNS1_3repE0EEENS1_30default_config_static_selectorELNS0_4arch9wavefront6targetE0EEEvSP_: ; @_ZN7rocprim17ROCPRIM_400000_NS6detail17trampoline_kernelINS0_14default_configENS1_21merge_config_selectorIiNS0_10empty_typeEEEZNS1_10merge_implIS3_N6thrust23THRUST_200600_302600_NS6detail15normal_iteratorINS9_10device_ptrIKiEEEESF_NSB_INSC_IiEEEEPS5_SI_SI_NS9_4lessIiEEEE10hipError_tPvRmT0_T1_T2_T3_T4_T5_mmT6_P12ihipStream_tbEUlT_E0_NS1_11comp_targetILNS1_3genE3ELNS1_11target_archE908ELNS1_3gpuE7ELNS1_3repE0EEENS1_30default_config_static_selectorELNS0_4arch9wavefront6targetE0EEEvSP_
; %bb.0:
	.section	.rodata,"a",@progbits
	.p2align	6, 0x0
	.amdhsa_kernel _ZN7rocprim17ROCPRIM_400000_NS6detail17trampoline_kernelINS0_14default_configENS1_21merge_config_selectorIiNS0_10empty_typeEEEZNS1_10merge_implIS3_N6thrust23THRUST_200600_302600_NS6detail15normal_iteratorINS9_10device_ptrIKiEEEESF_NSB_INSC_IiEEEEPS5_SI_SI_NS9_4lessIiEEEE10hipError_tPvRmT0_T1_T2_T3_T4_T5_mmT6_P12ihipStream_tbEUlT_E0_NS1_11comp_targetILNS1_3genE3ELNS1_11target_archE908ELNS1_3gpuE7ELNS1_3repE0EEENS1_30default_config_static_selectorELNS0_4arch9wavefront6targetE0EEEvSP_
		.amdhsa_group_segment_fixed_size 0
		.amdhsa_private_segment_fixed_size 0
		.amdhsa_kernarg_size 88
		.amdhsa_user_sgpr_count 6
		.amdhsa_user_sgpr_private_segment_buffer 1
		.amdhsa_user_sgpr_dispatch_ptr 0
		.amdhsa_user_sgpr_queue_ptr 0
		.amdhsa_user_sgpr_kernarg_segment_ptr 1
		.amdhsa_user_sgpr_dispatch_id 0
		.amdhsa_user_sgpr_flat_scratch_init 0
		.amdhsa_user_sgpr_private_segment_size 0
		.amdhsa_wavefront_size32 1
		.amdhsa_uses_dynamic_stack 0
		.amdhsa_system_sgpr_private_segment_wavefront_offset 0
		.amdhsa_system_sgpr_workgroup_id_x 1
		.amdhsa_system_sgpr_workgroup_id_y 0
		.amdhsa_system_sgpr_workgroup_id_z 0
		.amdhsa_system_sgpr_workgroup_info 0
		.amdhsa_system_vgpr_workitem_id 0
		.amdhsa_next_free_vgpr 1
		.amdhsa_next_free_sgpr 1
		.amdhsa_reserve_vcc 0
		.amdhsa_reserve_flat_scratch 0
		.amdhsa_float_round_mode_32 0
		.amdhsa_float_round_mode_16_64 0
		.amdhsa_float_denorm_mode_32 3
		.amdhsa_float_denorm_mode_16_64 3
		.amdhsa_dx10_clamp 1
		.amdhsa_ieee_mode 1
		.amdhsa_fp16_overflow 0
		.amdhsa_workgroup_processor_mode 1
		.amdhsa_memory_ordered 1
		.amdhsa_forward_progress 1
		.amdhsa_shared_vgpr_count 0
		.amdhsa_exception_fp_ieee_invalid_op 0
		.amdhsa_exception_fp_denorm_src 0
		.amdhsa_exception_fp_ieee_div_zero 0
		.amdhsa_exception_fp_ieee_overflow 0
		.amdhsa_exception_fp_ieee_underflow 0
		.amdhsa_exception_fp_ieee_inexact 0
		.amdhsa_exception_int_div_zero 0
	.end_amdhsa_kernel
	.section	.text._ZN7rocprim17ROCPRIM_400000_NS6detail17trampoline_kernelINS0_14default_configENS1_21merge_config_selectorIiNS0_10empty_typeEEEZNS1_10merge_implIS3_N6thrust23THRUST_200600_302600_NS6detail15normal_iteratorINS9_10device_ptrIKiEEEESF_NSB_INSC_IiEEEEPS5_SI_SI_NS9_4lessIiEEEE10hipError_tPvRmT0_T1_T2_T3_T4_T5_mmT6_P12ihipStream_tbEUlT_E0_NS1_11comp_targetILNS1_3genE3ELNS1_11target_archE908ELNS1_3gpuE7ELNS1_3repE0EEENS1_30default_config_static_selectorELNS0_4arch9wavefront6targetE0EEEvSP_,"axG",@progbits,_ZN7rocprim17ROCPRIM_400000_NS6detail17trampoline_kernelINS0_14default_configENS1_21merge_config_selectorIiNS0_10empty_typeEEEZNS1_10merge_implIS3_N6thrust23THRUST_200600_302600_NS6detail15normal_iteratorINS9_10device_ptrIKiEEEESF_NSB_INSC_IiEEEEPS5_SI_SI_NS9_4lessIiEEEE10hipError_tPvRmT0_T1_T2_T3_T4_T5_mmT6_P12ihipStream_tbEUlT_E0_NS1_11comp_targetILNS1_3genE3ELNS1_11target_archE908ELNS1_3gpuE7ELNS1_3repE0EEENS1_30default_config_static_selectorELNS0_4arch9wavefront6targetE0EEEvSP_,comdat
.Lfunc_end13:
	.size	_ZN7rocprim17ROCPRIM_400000_NS6detail17trampoline_kernelINS0_14default_configENS1_21merge_config_selectorIiNS0_10empty_typeEEEZNS1_10merge_implIS3_N6thrust23THRUST_200600_302600_NS6detail15normal_iteratorINS9_10device_ptrIKiEEEESF_NSB_INSC_IiEEEEPS5_SI_SI_NS9_4lessIiEEEE10hipError_tPvRmT0_T1_T2_T3_T4_T5_mmT6_P12ihipStream_tbEUlT_E0_NS1_11comp_targetILNS1_3genE3ELNS1_11target_archE908ELNS1_3gpuE7ELNS1_3repE0EEENS1_30default_config_static_selectorELNS0_4arch9wavefront6targetE0EEEvSP_, .Lfunc_end13-_ZN7rocprim17ROCPRIM_400000_NS6detail17trampoline_kernelINS0_14default_configENS1_21merge_config_selectorIiNS0_10empty_typeEEEZNS1_10merge_implIS3_N6thrust23THRUST_200600_302600_NS6detail15normal_iteratorINS9_10device_ptrIKiEEEESF_NSB_INSC_IiEEEEPS5_SI_SI_NS9_4lessIiEEEE10hipError_tPvRmT0_T1_T2_T3_T4_T5_mmT6_P12ihipStream_tbEUlT_E0_NS1_11comp_targetILNS1_3genE3ELNS1_11target_archE908ELNS1_3gpuE7ELNS1_3repE0EEENS1_30default_config_static_selectorELNS0_4arch9wavefront6targetE0EEEvSP_
                                        ; -- End function
	.set _ZN7rocprim17ROCPRIM_400000_NS6detail17trampoline_kernelINS0_14default_configENS1_21merge_config_selectorIiNS0_10empty_typeEEEZNS1_10merge_implIS3_N6thrust23THRUST_200600_302600_NS6detail15normal_iteratorINS9_10device_ptrIKiEEEESF_NSB_INSC_IiEEEEPS5_SI_SI_NS9_4lessIiEEEE10hipError_tPvRmT0_T1_T2_T3_T4_T5_mmT6_P12ihipStream_tbEUlT_E0_NS1_11comp_targetILNS1_3genE3ELNS1_11target_archE908ELNS1_3gpuE7ELNS1_3repE0EEENS1_30default_config_static_selectorELNS0_4arch9wavefront6targetE0EEEvSP_.num_vgpr, 0
	.set _ZN7rocprim17ROCPRIM_400000_NS6detail17trampoline_kernelINS0_14default_configENS1_21merge_config_selectorIiNS0_10empty_typeEEEZNS1_10merge_implIS3_N6thrust23THRUST_200600_302600_NS6detail15normal_iteratorINS9_10device_ptrIKiEEEESF_NSB_INSC_IiEEEEPS5_SI_SI_NS9_4lessIiEEEE10hipError_tPvRmT0_T1_T2_T3_T4_T5_mmT6_P12ihipStream_tbEUlT_E0_NS1_11comp_targetILNS1_3genE3ELNS1_11target_archE908ELNS1_3gpuE7ELNS1_3repE0EEENS1_30default_config_static_selectorELNS0_4arch9wavefront6targetE0EEEvSP_.num_agpr, 0
	.set _ZN7rocprim17ROCPRIM_400000_NS6detail17trampoline_kernelINS0_14default_configENS1_21merge_config_selectorIiNS0_10empty_typeEEEZNS1_10merge_implIS3_N6thrust23THRUST_200600_302600_NS6detail15normal_iteratorINS9_10device_ptrIKiEEEESF_NSB_INSC_IiEEEEPS5_SI_SI_NS9_4lessIiEEEE10hipError_tPvRmT0_T1_T2_T3_T4_T5_mmT6_P12ihipStream_tbEUlT_E0_NS1_11comp_targetILNS1_3genE3ELNS1_11target_archE908ELNS1_3gpuE7ELNS1_3repE0EEENS1_30default_config_static_selectorELNS0_4arch9wavefront6targetE0EEEvSP_.numbered_sgpr, 0
	.set _ZN7rocprim17ROCPRIM_400000_NS6detail17trampoline_kernelINS0_14default_configENS1_21merge_config_selectorIiNS0_10empty_typeEEEZNS1_10merge_implIS3_N6thrust23THRUST_200600_302600_NS6detail15normal_iteratorINS9_10device_ptrIKiEEEESF_NSB_INSC_IiEEEEPS5_SI_SI_NS9_4lessIiEEEE10hipError_tPvRmT0_T1_T2_T3_T4_T5_mmT6_P12ihipStream_tbEUlT_E0_NS1_11comp_targetILNS1_3genE3ELNS1_11target_archE908ELNS1_3gpuE7ELNS1_3repE0EEENS1_30default_config_static_selectorELNS0_4arch9wavefront6targetE0EEEvSP_.num_named_barrier, 0
	.set _ZN7rocprim17ROCPRIM_400000_NS6detail17trampoline_kernelINS0_14default_configENS1_21merge_config_selectorIiNS0_10empty_typeEEEZNS1_10merge_implIS3_N6thrust23THRUST_200600_302600_NS6detail15normal_iteratorINS9_10device_ptrIKiEEEESF_NSB_INSC_IiEEEEPS5_SI_SI_NS9_4lessIiEEEE10hipError_tPvRmT0_T1_T2_T3_T4_T5_mmT6_P12ihipStream_tbEUlT_E0_NS1_11comp_targetILNS1_3genE3ELNS1_11target_archE908ELNS1_3gpuE7ELNS1_3repE0EEENS1_30default_config_static_selectorELNS0_4arch9wavefront6targetE0EEEvSP_.private_seg_size, 0
	.set _ZN7rocprim17ROCPRIM_400000_NS6detail17trampoline_kernelINS0_14default_configENS1_21merge_config_selectorIiNS0_10empty_typeEEEZNS1_10merge_implIS3_N6thrust23THRUST_200600_302600_NS6detail15normal_iteratorINS9_10device_ptrIKiEEEESF_NSB_INSC_IiEEEEPS5_SI_SI_NS9_4lessIiEEEE10hipError_tPvRmT0_T1_T2_T3_T4_T5_mmT6_P12ihipStream_tbEUlT_E0_NS1_11comp_targetILNS1_3genE3ELNS1_11target_archE908ELNS1_3gpuE7ELNS1_3repE0EEENS1_30default_config_static_selectorELNS0_4arch9wavefront6targetE0EEEvSP_.uses_vcc, 0
	.set _ZN7rocprim17ROCPRIM_400000_NS6detail17trampoline_kernelINS0_14default_configENS1_21merge_config_selectorIiNS0_10empty_typeEEEZNS1_10merge_implIS3_N6thrust23THRUST_200600_302600_NS6detail15normal_iteratorINS9_10device_ptrIKiEEEESF_NSB_INSC_IiEEEEPS5_SI_SI_NS9_4lessIiEEEE10hipError_tPvRmT0_T1_T2_T3_T4_T5_mmT6_P12ihipStream_tbEUlT_E0_NS1_11comp_targetILNS1_3genE3ELNS1_11target_archE908ELNS1_3gpuE7ELNS1_3repE0EEENS1_30default_config_static_selectorELNS0_4arch9wavefront6targetE0EEEvSP_.uses_flat_scratch, 0
	.set _ZN7rocprim17ROCPRIM_400000_NS6detail17trampoline_kernelINS0_14default_configENS1_21merge_config_selectorIiNS0_10empty_typeEEEZNS1_10merge_implIS3_N6thrust23THRUST_200600_302600_NS6detail15normal_iteratorINS9_10device_ptrIKiEEEESF_NSB_INSC_IiEEEEPS5_SI_SI_NS9_4lessIiEEEE10hipError_tPvRmT0_T1_T2_T3_T4_T5_mmT6_P12ihipStream_tbEUlT_E0_NS1_11comp_targetILNS1_3genE3ELNS1_11target_archE908ELNS1_3gpuE7ELNS1_3repE0EEENS1_30default_config_static_selectorELNS0_4arch9wavefront6targetE0EEEvSP_.has_dyn_sized_stack, 0
	.set _ZN7rocprim17ROCPRIM_400000_NS6detail17trampoline_kernelINS0_14default_configENS1_21merge_config_selectorIiNS0_10empty_typeEEEZNS1_10merge_implIS3_N6thrust23THRUST_200600_302600_NS6detail15normal_iteratorINS9_10device_ptrIKiEEEESF_NSB_INSC_IiEEEEPS5_SI_SI_NS9_4lessIiEEEE10hipError_tPvRmT0_T1_T2_T3_T4_T5_mmT6_P12ihipStream_tbEUlT_E0_NS1_11comp_targetILNS1_3genE3ELNS1_11target_archE908ELNS1_3gpuE7ELNS1_3repE0EEENS1_30default_config_static_selectorELNS0_4arch9wavefront6targetE0EEEvSP_.has_recursion, 0
	.set _ZN7rocprim17ROCPRIM_400000_NS6detail17trampoline_kernelINS0_14default_configENS1_21merge_config_selectorIiNS0_10empty_typeEEEZNS1_10merge_implIS3_N6thrust23THRUST_200600_302600_NS6detail15normal_iteratorINS9_10device_ptrIKiEEEESF_NSB_INSC_IiEEEEPS5_SI_SI_NS9_4lessIiEEEE10hipError_tPvRmT0_T1_T2_T3_T4_T5_mmT6_P12ihipStream_tbEUlT_E0_NS1_11comp_targetILNS1_3genE3ELNS1_11target_archE908ELNS1_3gpuE7ELNS1_3repE0EEENS1_30default_config_static_selectorELNS0_4arch9wavefront6targetE0EEEvSP_.has_indirect_call, 0
	.section	.AMDGPU.csdata,"",@progbits
; Kernel info:
; codeLenInByte = 0
; TotalNumSgprs: 0
; NumVgprs: 0
; ScratchSize: 0
; MemoryBound: 0
; FloatMode: 240
; IeeeMode: 1
; LDSByteSize: 0 bytes/workgroup (compile time only)
; SGPRBlocks: 0
; VGPRBlocks: 0
; NumSGPRsForWavesPerEU: 1
; NumVGPRsForWavesPerEU: 1
; Occupancy: 16
; WaveLimiterHint : 0
; COMPUTE_PGM_RSRC2:SCRATCH_EN: 0
; COMPUTE_PGM_RSRC2:USER_SGPR: 6
; COMPUTE_PGM_RSRC2:TRAP_HANDLER: 0
; COMPUTE_PGM_RSRC2:TGID_X_EN: 1
; COMPUTE_PGM_RSRC2:TGID_Y_EN: 0
; COMPUTE_PGM_RSRC2:TGID_Z_EN: 0
; COMPUTE_PGM_RSRC2:TIDIG_COMP_CNT: 0
	.section	.text._ZN7rocprim17ROCPRIM_400000_NS6detail17trampoline_kernelINS0_14default_configENS1_21merge_config_selectorIiNS0_10empty_typeEEEZNS1_10merge_implIS3_N6thrust23THRUST_200600_302600_NS6detail15normal_iteratorINS9_10device_ptrIKiEEEESF_NSB_INSC_IiEEEEPS5_SI_SI_NS9_4lessIiEEEE10hipError_tPvRmT0_T1_T2_T3_T4_T5_mmT6_P12ihipStream_tbEUlT_E0_NS1_11comp_targetILNS1_3genE2ELNS1_11target_archE906ELNS1_3gpuE6ELNS1_3repE0EEENS1_30default_config_static_selectorELNS0_4arch9wavefront6targetE0EEEvSP_,"axG",@progbits,_ZN7rocprim17ROCPRIM_400000_NS6detail17trampoline_kernelINS0_14default_configENS1_21merge_config_selectorIiNS0_10empty_typeEEEZNS1_10merge_implIS3_N6thrust23THRUST_200600_302600_NS6detail15normal_iteratorINS9_10device_ptrIKiEEEESF_NSB_INSC_IiEEEEPS5_SI_SI_NS9_4lessIiEEEE10hipError_tPvRmT0_T1_T2_T3_T4_T5_mmT6_P12ihipStream_tbEUlT_E0_NS1_11comp_targetILNS1_3genE2ELNS1_11target_archE906ELNS1_3gpuE6ELNS1_3repE0EEENS1_30default_config_static_selectorELNS0_4arch9wavefront6targetE0EEEvSP_,comdat
	.protected	_ZN7rocprim17ROCPRIM_400000_NS6detail17trampoline_kernelINS0_14default_configENS1_21merge_config_selectorIiNS0_10empty_typeEEEZNS1_10merge_implIS3_N6thrust23THRUST_200600_302600_NS6detail15normal_iteratorINS9_10device_ptrIKiEEEESF_NSB_INSC_IiEEEEPS5_SI_SI_NS9_4lessIiEEEE10hipError_tPvRmT0_T1_T2_T3_T4_T5_mmT6_P12ihipStream_tbEUlT_E0_NS1_11comp_targetILNS1_3genE2ELNS1_11target_archE906ELNS1_3gpuE6ELNS1_3repE0EEENS1_30default_config_static_selectorELNS0_4arch9wavefront6targetE0EEEvSP_ ; -- Begin function _ZN7rocprim17ROCPRIM_400000_NS6detail17trampoline_kernelINS0_14default_configENS1_21merge_config_selectorIiNS0_10empty_typeEEEZNS1_10merge_implIS3_N6thrust23THRUST_200600_302600_NS6detail15normal_iteratorINS9_10device_ptrIKiEEEESF_NSB_INSC_IiEEEEPS5_SI_SI_NS9_4lessIiEEEE10hipError_tPvRmT0_T1_T2_T3_T4_T5_mmT6_P12ihipStream_tbEUlT_E0_NS1_11comp_targetILNS1_3genE2ELNS1_11target_archE906ELNS1_3gpuE6ELNS1_3repE0EEENS1_30default_config_static_selectorELNS0_4arch9wavefront6targetE0EEEvSP_
	.globl	_ZN7rocprim17ROCPRIM_400000_NS6detail17trampoline_kernelINS0_14default_configENS1_21merge_config_selectorIiNS0_10empty_typeEEEZNS1_10merge_implIS3_N6thrust23THRUST_200600_302600_NS6detail15normal_iteratorINS9_10device_ptrIKiEEEESF_NSB_INSC_IiEEEEPS5_SI_SI_NS9_4lessIiEEEE10hipError_tPvRmT0_T1_T2_T3_T4_T5_mmT6_P12ihipStream_tbEUlT_E0_NS1_11comp_targetILNS1_3genE2ELNS1_11target_archE906ELNS1_3gpuE6ELNS1_3repE0EEENS1_30default_config_static_selectorELNS0_4arch9wavefront6targetE0EEEvSP_
	.p2align	8
	.type	_ZN7rocprim17ROCPRIM_400000_NS6detail17trampoline_kernelINS0_14default_configENS1_21merge_config_selectorIiNS0_10empty_typeEEEZNS1_10merge_implIS3_N6thrust23THRUST_200600_302600_NS6detail15normal_iteratorINS9_10device_ptrIKiEEEESF_NSB_INSC_IiEEEEPS5_SI_SI_NS9_4lessIiEEEE10hipError_tPvRmT0_T1_T2_T3_T4_T5_mmT6_P12ihipStream_tbEUlT_E0_NS1_11comp_targetILNS1_3genE2ELNS1_11target_archE906ELNS1_3gpuE6ELNS1_3repE0EEENS1_30default_config_static_selectorELNS0_4arch9wavefront6targetE0EEEvSP_,@function
_ZN7rocprim17ROCPRIM_400000_NS6detail17trampoline_kernelINS0_14default_configENS1_21merge_config_selectorIiNS0_10empty_typeEEEZNS1_10merge_implIS3_N6thrust23THRUST_200600_302600_NS6detail15normal_iteratorINS9_10device_ptrIKiEEEESF_NSB_INSC_IiEEEEPS5_SI_SI_NS9_4lessIiEEEE10hipError_tPvRmT0_T1_T2_T3_T4_T5_mmT6_P12ihipStream_tbEUlT_E0_NS1_11comp_targetILNS1_3genE2ELNS1_11target_archE906ELNS1_3gpuE6ELNS1_3repE0EEENS1_30default_config_static_selectorELNS0_4arch9wavefront6targetE0EEEvSP_: ; @_ZN7rocprim17ROCPRIM_400000_NS6detail17trampoline_kernelINS0_14default_configENS1_21merge_config_selectorIiNS0_10empty_typeEEEZNS1_10merge_implIS3_N6thrust23THRUST_200600_302600_NS6detail15normal_iteratorINS9_10device_ptrIKiEEEESF_NSB_INSC_IiEEEEPS5_SI_SI_NS9_4lessIiEEEE10hipError_tPvRmT0_T1_T2_T3_T4_T5_mmT6_P12ihipStream_tbEUlT_E0_NS1_11comp_targetILNS1_3genE2ELNS1_11target_archE906ELNS1_3gpuE6ELNS1_3repE0EEENS1_30default_config_static_selectorELNS0_4arch9wavefront6targetE0EEEvSP_
; %bb.0:
	.section	.rodata,"a",@progbits
	.p2align	6, 0x0
	.amdhsa_kernel _ZN7rocprim17ROCPRIM_400000_NS6detail17trampoline_kernelINS0_14default_configENS1_21merge_config_selectorIiNS0_10empty_typeEEEZNS1_10merge_implIS3_N6thrust23THRUST_200600_302600_NS6detail15normal_iteratorINS9_10device_ptrIKiEEEESF_NSB_INSC_IiEEEEPS5_SI_SI_NS9_4lessIiEEEE10hipError_tPvRmT0_T1_T2_T3_T4_T5_mmT6_P12ihipStream_tbEUlT_E0_NS1_11comp_targetILNS1_3genE2ELNS1_11target_archE906ELNS1_3gpuE6ELNS1_3repE0EEENS1_30default_config_static_selectorELNS0_4arch9wavefront6targetE0EEEvSP_
		.amdhsa_group_segment_fixed_size 0
		.amdhsa_private_segment_fixed_size 0
		.amdhsa_kernarg_size 88
		.amdhsa_user_sgpr_count 6
		.amdhsa_user_sgpr_private_segment_buffer 1
		.amdhsa_user_sgpr_dispatch_ptr 0
		.amdhsa_user_sgpr_queue_ptr 0
		.amdhsa_user_sgpr_kernarg_segment_ptr 1
		.amdhsa_user_sgpr_dispatch_id 0
		.amdhsa_user_sgpr_flat_scratch_init 0
		.amdhsa_user_sgpr_private_segment_size 0
		.amdhsa_wavefront_size32 1
		.amdhsa_uses_dynamic_stack 0
		.amdhsa_system_sgpr_private_segment_wavefront_offset 0
		.amdhsa_system_sgpr_workgroup_id_x 1
		.amdhsa_system_sgpr_workgroup_id_y 0
		.amdhsa_system_sgpr_workgroup_id_z 0
		.amdhsa_system_sgpr_workgroup_info 0
		.amdhsa_system_vgpr_workitem_id 0
		.amdhsa_next_free_vgpr 1
		.amdhsa_next_free_sgpr 1
		.amdhsa_reserve_vcc 0
		.amdhsa_reserve_flat_scratch 0
		.amdhsa_float_round_mode_32 0
		.amdhsa_float_round_mode_16_64 0
		.amdhsa_float_denorm_mode_32 3
		.amdhsa_float_denorm_mode_16_64 3
		.amdhsa_dx10_clamp 1
		.amdhsa_ieee_mode 1
		.amdhsa_fp16_overflow 0
		.amdhsa_workgroup_processor_mode 1
		.amdhsa_memory_ordered 1
		.amdhsa_forward_progress 1
		.amdhsa_shared_vgpr_count 0
		.amdhsa_exception_fp_ieee_invalid_op 0
		.amdhsa_exception_fp_denorm_src 0
		.amdhsa_exception_fp_ieee_div_zero 0
		.amdhsa_exception_fp_ieee_overflow 0
		.amdhsa_exception_fp_ieee_underflow 0
		.amdhsa_exception_fp_ieee_inexact 0
		.amdhsa_exception_int_div_zero 0
	.end_amdhsa_kernel
	.section	.text._ZN7rocprim17ROCPRIM_400000_NS6detail17trampoline_kernelINS0_14default_configENS1_21merge_config_selectorIiNS0_10empty_typeEEEZNS1_10merge_implIS3_N6thrust23THRUST_200600_302600_NS6detail15normal_iteratorINS9_10device_ptrIKiEEEESF_NSB_INSC_IiEEEEPS5_SI_SI_NS9_4lessIiEEEE10hipError_tPvRmT0_T1_T2_T3_T4_T5_mmT6_P12ihipStream_tbEUlT_E0_NS1_11comp_targetILNS1_3genE2ELNS1_11target_archE906ELNS1_3gpuE6ELNS1_3repE0EEENS1_30default_config_static_selectorELNS0_4arch9wavefront6targetE0EEEvSP_,"axG",@progbits,_ZN7rocprim17ROCPRIM_400000_NS6detail17trampoline_kernelINS0_14default_configENS1_21merge_config_selectorIiNS0_10empty_typeEEEZNS1_10merge_implIS3_N6thrust23THRUST_200600_302600_NS6detail15normal_iteratorINS9_10device_ptrIKiEEEESF_NSB_INSC_IiEEEEPS5_SI_SI_NS9_4lessIiEEEE10hipError_tPvRmT0_T1_T2_T3_T4_T5_mmT6_P12ihipStream_tbEUlT_E0_NS1_11comp_targetILNS1_3genE2ELNS1_11target_archE906ELNS1_3gpuE6ELNS1_3repE0EEENS1_30default_config_static_selectorELNS0_4arch9wavefront6targetE0EEEvSP_,comdat
.Lfunc_end14:
	.size	_ZN7rocprim17ROCPRIM_400000_NS6detail17trampoline_kernelINS0_14default_configENS1_21merge_config_selectorIiNS0_10empty_typeEEEZNS1_10merge_implIS3_N6thrust23THRUST_200600_302600_NS6detail15normal_iteratorINS9_10device_ptrIKiEEEESF_NSB_INSC_IiEEEEPS5_SI_SI_NS9_4lessIiEEEE10hipError_tPvRmT0_T1_T2_T3_T4_T5_mmT6_P12ihipStream_tbEUlT_E0_NS1_11comp_targetILNS1_3genE2ELNS1_11target_archE906ELNS1_3gpuE6ELNS1_3repE0EEENS1_30default_config_static_selectorELNS0_4arch9wavefront6targetE0EEEvSP_, .Lfunc_end14-_ZN7rocprim17ROCPRIM_400000_NS6detail17trampoline_kernelINS0_14default_configENS1_21merge_config_selectorIiNS0_10empty_typeEEEZNS1_10merge_implIS3_N6thrust23THRUST_200600_302600_NS6detail15normal_iteratorINS9_10device_ptrIKiEEEESF_NSB_INSC_IiEEEEPS5_SI_SI_NS9_4lessIiEEEE10hipError_tPvRmT0_T1_T2_T3_T4_T5_mmT6_P12ihipStream_tbEUlT_E0_NS1_11comp_targetILNS1_3genE2ELNS1_11target_archE906ELNS1_3gpuE6ELNS1_3repE0EEENS1_30default_config_static_selectorELNS0_4arch9wavefront6targetE0EEEvSP_
                                        ; -- End function
	.set _ZN7rocprim17ROCPRIM_400000_NS6detail17trampoline_kernelINS0_14default_configENS1_21merge_config_selectorIiNS0_10empty_typeEEEZNS1_10merge_implIS3_N6thrust23THRUST_200600_302600_NS6detail15normal_iteratorINS9_10device_ptrIKiEEEESF_NSB_INSC_IiEEEEPS5_SI_SI_NS9_4lessIiEEEE10hipError_tPvRmT0_T1_T2_T3_T4_T5_mmT6_P12ihipStream_tbEUlT_E0_NS1_11comp_targetILNS1_3genE2ELNS1_11target_archE906ELNS1_3gpuE6ELNS1_3repE0EEENS1_30default_config_static_selectorELNS0_4arch9wavefront6targetE0EEEvSP_.num_vgpr, 0
	.set _ZN7rocprim17ROCPRIM_400000_NS6detail17trampoline_kernelINS0_14default_configENS1_21merge_config_selectorIiNS0_10empty_typeEEEZNS1_10merge_implIS3_N6thrust23THRUST_200600_302600_NS6detail15normal_iteratorINS9_10device_ptrIKiEEEESF_NSB_INSC_IiEEEEPS5_SI_SI_NS9_4lessIiEEEE10hipError_tPvRmT0_T1_T2_T3_T4_T5_mmT6_P12ihipStream_tbEUlT_E0_NS1_11comp_targetILNS1_3genE2ELNS1_11target_archE906ELNS1_3gpuE6ELNS1_3repE0EEENS1_30default_config_static_selectorELNS0_4arch9wavefront6targetE0EEEvSP_.num_agpr, 0
	.set _ZN7rocprim17ROCPRIM_400000_NS6detail17trampoline_kernelINS0_14default_configENS1_21merge_config_selectorIiNS0_10empty_typeEEEZNS1_10merge_implIS3_N6thrust23THRUST_200600_302600_NS6detail15normal_iteratorINS9_10device_ptrIKiEEEESF_NSB_INSC_IiEEEEPS5_SI_SI_NS9_4lessIiEEEE10hipError_tPvRmT0_T1_T2_T3_T4_T5_mmT6_P12ihipStream_tbEUlT_E0_NS1_11comp_targetILNS1_3genE2ELNS1_11target_archE906ELNS1_3gpuE6ELNS1_3repE0EEENS1_30default_config_static_selectorELNS0_4arch9wavefront6targetE0EEEvSP_.numbered_sgpr, 0
	.set _ZN7rocprim17ROCPRIM_400000_NS6detail17trampoline_kernelINS0_14default_configENS1_21merge_config_selectorIiNS0_10empty_typeEEEZNS1_10merge_implIS3_N6thrust23THRUST_200600_302600_NS6detail15normal_iteratorINS9_10device_ptrIKiEEEESF_NSB_INSC_IiEEEEPS5_SI_SI_NS9_4lessIiEEEE10hipError_tPvRmT0_T1_T2_T3_T4_T5_mmT6_P12ihipStream_tbEUlT_E0_NS1_11comp_targetILNS1_3genE2ELNS1_11target_archE906ELNS1_3gpuE6ELNS1_3repE0EEENS1_30default_config_static_selectorELNS0_4arch9wavefront6targetE0EEEvSP_.num_named_barrier, 0
	.set _ZN7rocprim17ROCPRIM_400000_NS6detail17trampoline_kernelINS0_14default_configENS1_21merge_config_selectorIiNS0_10empty_typeEEEZNS1_10merge_implIS3_N6thrust23THRUST_200600_302600_NS6detail15normal_iteratorINS9_10device_ptrIKiEEEESF_NSB_INSC_IiEEEEPS5_SI_SI_NS9_4lessIiEEEE10hipError_tPvRmT0_T1_T2_T3_T4_T5_mmT6_P12ihipStream_tbEUlT_E0_NS1_11comp_targetILNS1_3genE2ELNS1_11target_archE906ELNS1_3gpuE6ELNS1_3repE0EEENS1_30default_config_static_selectorELNS0_4arch9wavefront6targetE0EEEvSP_.private_seg_size, 0
	.set _ZN7rocprim17ROCPRIM_400000_NS6detail17trampoline_kernelINS0_14default_configENS1_21merge_config_selectorIiNS0_10empty_typeEEEZNS1_10merge_implIS3_N6thrust23THRUST_200600_302600_NS6detail15normal_iteratorINS9_10device_ptrIKiEEEESF_NSB_INSC_IiEEEEPS5_SI_SI_NS9_4lessIiEEEE10hipError_tPvRmT0_T1_T2_T3_T4_T5_mmT6_P12ihipStream_tbEUlT_E0_NS1_11comp_targetILNS1_3genE2ELNS1_11target_archE906ELNS1_3gpuE6ELNS1_3repE0EEENS1_30default_config_static_selectorELNS0_4arch9wavefront6targetE0EEEvSP_.uses_vcc, 0
	.set _ZN7rocprim17ROCPRIM_400000_NS6detail17trampoline_kernelINS0_14default_configENS1_21merge_config_selectorIiNS0_10empty_typeEEEZNS1_10merge_implIS3_N6thrust23THRUST_200600_302600_NS6detail15normal_iteratorINS9_10device_ptrIKiEEEESF_NSB_INSC_IiEEEEPS5_SI_SI_NS9_4lessIiEEEE10hipError_tPvRmT0_T1_T2_T3_T4_T5_mmT6_P12ihipStream_tbEUlT_E0_NS1_11comp_targetILNS1_3genE2ELNS1_11target_archE906ELNS1_3gpuE6ELNS1_3repE0EEENS1_30default_config_static_selectorELNS0_4arch9wavefront6targetE0EEEvSP_.uses_flat_scratch, 0
	.set _ZN7rocprim17ROCPRIM_400000_NS6detail17trampoline_kernelINS0_14default_configENS1_21merge_config_selectorIiNS0_10empty_typeEEEZNS1_10merge_implIS3_N6thrust23THRUST_200600_302600_NS6detail15normal_iteratorINS9_10device_ptrIKiEEEESF_NSB_INSC_IiEEEEPS5_SI_SI_NS9_4lessIiEEEE10hipError_tPvRmT0_T1_T2_T3_T4_T5_mmT6_P12ihipStream_tbEUlT_E0_NS1_11comp_targetILNS1_3genE2ELNS1_11target_archE906ELNS1_3gpuE6ELNS1_3repE0EEENS1_30default_config_static_selectorELNS0_4arch9wavefront6targetE0EEEvSP_.has_dyn_sized_stack, 0
	.set _ZN7rocprim17ROCPRIM_400000_NS6detail17trampoline_kernelINS0_14default_configENS1_21merge_config_selectorIiNS0_10empty_typeEEEZNS1_10merge_implIS3_N6thrust23THRUST_200600_302600_NS6detail15normal_iteratorINS9_10device_ptrIKiEEEESF_NSB_INSC_IiEEEEPS5_SI_SI_NS9_4lessIiEEEE10hipError_tPvRmT0_T1_T2_T3_T4_T5_mmT6_P12ihipStream_tbEUlT_E0_NS1_11comp_targetILNS1_3genE2ELNS1_11target_archE906ELNS1_3gpuE6ELNS1_3repE0EEENS1_30default_config_static_selectorELNS0_4arch9wavefront6targetE0EEEvSP_.has_recursion, 0
	.set _ZN7rocprim17ROCPRIM_400000_NS6detail17trampoline_kernelINS0_14default_configENS1_21merge_config_selectorIiNS0_10empty_typeEEEZNS1_10merge_implIS3_N6thrust23THRUST_200600_302600_NS6detail15normal_iteratorINS9_10device_ptrIKiEEEESF_NSB_INSC_IiEEEEPS5_SI_SI_NS9_4lessIiEEEE10hipError_tPvRmT0_T1_T2_T3_T4_T5_mmT6_P12ihipStream_tbEUlT_E0_NS1_11comp_targetILNS1_3genE2ELNS1_11target_archE906ELNS1_3gpuE6ELNS1_3repE0EEENS1_30default_config_static_selectorELNS0_4arch9wavefront6targetE0EEEvSP_.has_indirect_call, 0
	.section	.AMDGPU.csdata,"",@progbits
; Kernel info:
; codeLenInByte = 0
; TotalNumSgprs: 0
; NumVgprs: 0
; ScratchSize: 0
; MemoryBound: 0
; FloatMode: 240
; IeeeMode: 1
; LDSByteSize: 0 bytes/workgroup (compile time only)
; SGPRBlocks: 0
; VGPRBlocks: 0
; NumSGPRsForWavesPerEU: 1
; NumVGPRsForWavesPerEU: 1
; Occupancy: 16
; WaveLimiterHint : 0
; COMPUTE_PGM_RSRC2:SCRATCH_EN: 0
; COMPUTE_PGM_RSRC2:USER_SGPR: 6
; COMPUTE_PGM_RSRC2:TRAP_HANDLER: 0
; COMPUTE_PGM_RSRC2:TGID_X_EN: 1
; COMPUTE_PGM_RSRC2:TGID_Y_EN: 0
; COMPUTE_PGM_RSRC2:TGID_Z_EN: 0
; COMPUTE_PGM_RSRC2:TIDIG_COMP_CNT: 0
	.section	.text._ZN7rocprim17ROCPRIM_400000_NS6detail17trampoline_kernelINS0_14default_configENS1_21merge_config_selectorIiNS0_10empty_typeEEEZNS1_10merge_implIS3_N6thrust23THRUST_200600_302600_NS6detail15normal_iteratorINS9_10device_ptrIKiEEEESF_NSB_INSC_IiEEEEPS5_SI_SI_NS9_4lessIiEEEE10hipError_tPvRmT0_T1_T2_T3_T4_T5_mmT6_P12ihipStream_tbEUlT_E0_NS1_11comp_targetILNS1_3genE10ELNS1_11target_archE1201ELNS1_3gpuE5ELNS1_3repE0EEENS1_30default_config_static_selectorELNS0_4arch9wavefront6targetE0EEEvSP_,"axG",@progbits,_ZN7rocprim17ROCPRIM_400000_NS6detail17trampoline_kernelINS0_14default_configENS1_21merge_config_selectorIiNS0_10empty_typeEEEZNS1_10merge_implIS3_N6thrust23THRUST_200600_302600_NS6detail15normal_iteratorINS9_10device_ptrIKiEEEESF_NSB_INSC_IiEEEEPS5_SI_SI_NS9_4lessIiEEEE10hipError_tPvRmT0_T1_T2_T3_T4_T5_mmT6_P12ihipStream_tbEUlT_E0_NS1_11comp_targetILNS1_3genE10ELNS1_11target_archE1201ELNS1_3gpuE5ELNS1_3repE0EEENS1_30default_config_static_selectorELNS0_4arch9wavefront6targetE0EEEvSP_,comdat
	.protected	_ZN7rocprim17ROCPRIM_400000_NS6detail17trampoline_kernelINS0_14default_configENS1_21merge_config_selectorIiNS0_10empty_typeEEEZNS1_10merge_implIS3_N6thrust23THRUST_200600_302600_NS6detail15normal_iteratorINS9_10device_ptrIKiEEEESF_NSB_INSC_IiEEEEPS5_SI_SI_NS9_4lessIiEEEE10hipError_tPvRmT0_T1_T2_T3_T4_T5_mmT6_P12ihipStream_tbEUlT_E0_NS1_11comp_targetILNS1_3genE10ELNS1_11target_archE1201ELNS1_3gpuE5ELNS1_3repE0EEENS1_30default_config_static_selectorELNS0_4arch9wavefront6targetE0EEEvSP_ ; -- Begin function _ZN7rocprim17ROCPRIM_400000_NS6detail17trampoline_kernelINS0_14default_configENS1_21merge_config_selectorIiNS0_10empty_typeEEEZNS1_10merge_implIS3_N6thrust23THRUST_200600_302600_NS6detail15normal_iteratorINS9_10device_ptrIKiEEEESF_NSB_INSC_IiEEEEPS5_SI_SI_NS9_4lessIiEEEE10hipError_tPvRmT0_T1_T2_T3_T4_T5_mmT6_P12ihipStream_tbEUlT_E0_NS1_11comp_targetILNS1_3genE10ELNS1_11target_archE1201ELNS1_3gpuE5ELNS1_3repE0EEENS1_30default_config_static_selectorELNS0_4arch9wavefront6targetE0EEEvSP_
	.globl	_ZN7rocprim17ROCPRIM_400000_NS6detail17trampoline_kernelINS0_14default_configENS1_21merge_config_selectorIiNS0_10empty_typeEEEZNS1_10merge_implIS3_N6thrust23THRUST_200600_302600_NS6detail15normal_iteratorINS9_10device_ptrIKiEEEESF_NSB_INSC_IiEEEEPS5_SI_SI_NS9_4lessIiEEEE10hipError_tPvRmT0_T1_T2_T3_T4_T5_mmT6_P12ihipStream_tbEUlT_E0_NS1_11comp_targetILNS1_3genE10ELNS1_11target_archE1201ELNS1_3gpuE5ELNS1_3repE0EEENS1_30default_config_static_selectorELNS0_4arch9wavefront6targetE0EEEvSP_
	.p2align	8
	.type	_ZN7rocprim17ROCPRIM_400000_NS6detail17trampoline_kernelINS0_14default_configENS1_21merge_config_selectorIiNS0_10empty_typeEEEZNS1_10merge_implIS3_N6thrust23THRUST_200600_302600_NS6detail15normal_iteratorINS9_10device_ptrIKiEEEESF_NSB_INSC_IiEEEEPS5_SI_SI_NS9_4lessIiEEEE10hipError_tPvRmT0_T1_T2_T3_T4_T5_mmT6_P12ihipStream_tbEUlT_E0_NS1_11comp_targetILNS1_3genE10ELNS1_11target_archE1201ELNS1_3gpuE5ELNS1_3repE0EEENS1_30default_config_static_selectorELNS0_4arch9wavefront6targetE0EEEvSP_,@function
_ZN7rocprim17ROCPRIM_400000_NS6detail17trampoline_kernelINS0_14default_configENS1_21merge_config_selectorIiNS0_10empty_typeEEEZNS1_10merge_implIS3_N6thrust23THRUST_200600_302600_NS6detail15normal_iteratorINS9_10device_ptrIKiEEEESF_NSB_INSC_IiEEEEPS5_SI_SI_NS9_4lessIiEEEE10hipError_tPvRmT0_T1_T2_T3_T4_T5_mmT6_P12ihipStream_tbEUlT_E0_NS1_11comp_targetILNS1_3genE10ELNS1_11target_archE1201ELNS1_3gpuE5ELNS1_3repE0EEENS1_30default_config_static_selectorELNS0_4arch9wavefront6targetE0EEEvSP_: ; @_ZN7rocprim17ROCPRIM_400000_NS6detail17trampoline_kernelINS0_14default_configENS1_21merge_config_selectorIiNS0_10empty_typeEEEZNS1_10merge_implIS3_N6thrust23THRUST_200600_302600_NS6detail15normal_iteratorINS9_10device_ptrIKiEEEESF_NSB_INSC_IiEEEEPS5_SI_SI_NS9_4lessIiEEEE10hipError_tPvRmT0_T1_T2_T3_T4_T5_mmT6_P12ihipStream_tbEUlT_E0_NS1_11comp_targetILNS1_3genE10ELNS1_11target_archE1201ELNS1_3gpuE5ELNS1_3repE0EEENS1_30default_config_static_selectorELNS0_4arch9wavefront6targetE0EEEvSP_
; %bb.0:
	.section	.rodata,"a",@progbits
	.p2align	6, 0x0
	.amdhsa_kernel _ZN7rocprim17ROCPRIM_400000_NS6detail17trampoline_kernelINS0_14default_configENS1_21merge_config_selectorIiNS0_10empty_typeEEEZNS1_10merge_implIS3_N6thrust23THRUST_200600_302600_NS6detail15normal_iteratorINS9_10device_ptrIKiEEEESF_NSB_INSC_IiEEEEPS5_SI_SI_NS9_4lessIiEEEE10hipError_tPvRmT0_T1_T2_T3_T4_T5_mmT6_P12ihipStream_tbEUlT_E0_NS1_11comp_targetILNS1_3genE10ELNS1_11target_archE1201ELNS1_3gpuE5ELNS1_3repE0EEENS1_30default_config_static_selectorELNS0_4arch9wavefront6targetE0EEEvSP_
		.amdhsa_group_segment_fixed_size 0
		.amdhsa_private_segment_fixed_size 0
		.amdhsa_kernarg_size 88
		.amdhsa_user_sgpr_count 6
		.amdhsa_user_sgpr_private_segment_buffer 1
		.amdhsa_user_sgpr_dispatch_ptr 0
		.amdhsa_user_sgpr_queue_ptr 0
		.amdhsa_user_sgpr_kernarg_segment_ptr 1
		.amdhsa_user_sgpr_dispatch_id 0
		.amdhsa_user_sgpr_flat_scratch_init 0
		.amdhsa_user_sgpr_private_segment_size 0
		.amdhsa_wavefront_size32 1
		.amdhsa_uses_dynamic_stack 0
		.amdhsa_system_sgpr_private_segment_wavefront_offset 0
		.amdhsa_system_sgpr_workgroup_id_x 1
		.amdhsa_system_sgpr_workgroup_id_y 0
		.amdhsa_system_sgpr_workgroup_id_z 0
		.amdhsa_system_sgpr_workgroup_info 0
		.amdhsa_system_vgpr_workitem_id 0
		.amdhsa_next_free_vgpr 1
		.amdhsa_next_free_sgpr 1
		.amdhsa_reserve_vcc 0
		.amdhsa_reserve_flat_scratch 0
		.amdhsa_float_round_mode_32 0
		.amdhsa_float_round_mode_16_64 0
		.amdhsa_float_denorm_mode_32 3
		.amdhsa_float_denorm_mode_16_64 3
		.amdhsa_dx10_clamp 1
		.amdhsa_ieee_mode 1
		.amdhsa_fp16_overflow 0
		.amdhsa_workgroup_processor_mode 1
		.amdhsa_memory_ordered 1
		.amdhsa_forward_progress 1
		.amdhsa_shared_vgpr_count 0
		.amdhsa_exception_fp_ieee_invalid_op 0
		.amdhsa_exception_fp_denorm_src 0
		.amdhsa_exception_fp_ieee_div_zero 0
		.amdhsa_exception_fp_ieee_overflow 0
		.amdhsa_exception_fp_ieee_underflow 0
		.amdhsa_exception_fp_ieee_inexact 0
		.amdhsa_exception_int_div_zero 0
	.end_amdhsa_kernel
	.section	.text._ZN7rocprim17ROCPRIM_400000_NS6detail17trampoline_kernelINS0_14default_configENS1_21merge_config_selectorIiNS0_10empty_typeEEEZNS1_10merge_implIS3_N6thrust23THRUST_200600_302600_NS6detail15normal_iteratorINS9_10device_ptrIKiEEEESF_NSB_INSC_IiEEEEPS5_SI_SI_NS9_4lessIiEEEE10hipError_tPvRmT0_T1_T2_T3_T4_T5_mmT6_P12ihipStream_tbEUlT_E0_NS1_11comp_targetILNS1_3genE10ELNS1_11target_archE1201ELNS1_3gpuE5ELNS1_3repE0EEENS1_30default_config_static_selectorELNS0_4arch9wavefront6targetE0EEEvSP_,"axG",@progbits,_ZN7rocprim17ROCPRIM_400000_NS6detail17trampoline_kernelINS0_14default_configENS1_21merge_config_selectorIiNS0_10empty_typeEEEZNS1_10merge_implIS3_N6thrust23THRUST_200600_302600_NS6detail15normal_iteratorINS9_10device_ptrIKiEEEESF_NSB_INSC_IiEEEEPS5_SI_SI_NS9_4lessIiEEEE10hipError_tPvRmT0_T1_T2_T3_T4_T5_mmT6_P12ihipStream_tbEUlT_E0_NS1_11comp_targetILNS1_3genE10ELNS1_11target_archE1201ELNS1_3gpuE5ELNS1_3repE0EEENS1_30default_config_static_selectorELNS0_4arch9wavefront6targetE0EEEvSP_,comdat
.Lfunc_end15:
	.size	_ZN7rocprim17ROCPRIM_400000_NS6detail17trampoline_kernelINS0_14default_configENS1_21merge_config_selectorIiNS0_10empty_typeEEEZNS1_10merge_implIS3_N6thrust23THRUST_200600_302600_NS6detail15normal_iteratorINS9_10device_ptrIKiEEEESF_NSB_INSC_IiEEEEPS5_SI_SI_NS9_4lessIiEEEE10hipError_tPvRmT0_T1_T2_T3_T4_T5_mmT6_P12ihipStream_tbEUlT_E0_NS1_11comp_targetILNS1_3genE10ELNS1_11target_archE1201ELNS1_3gpuE5ELNS1_3repE0EEENS1_30default_config_static_selectorELNS0_4arch9wavefront6targetE0EEEvSP_, .Lfunc_end15-_ZN7rocprim17ROCPRIM_400000_NS6detail17trampoline_kernelINS0_14default_configENS1_21merge_config_selectorIiNS0_10empty_typeEEEZNS1_10merge_implIS3_N6thrust23THRUST_200600_302600_NS6detail15normal_iteratorINS9_10device_ptrIKiEEEESF_NSB_INSC_IiEEEEPS5_SI_SI_NS9_4lessIiEEEE10hipError_tPvRmT0_T1_T2_T3_T4_T5_mmT6_P12ihipStream_tbEUlT_E0_NS1_11comp_targetILNS1_3genE10ELNS1_11target_archE1201ELNS1_3gpuE5ELNS1_3repE0EEENS1_30default_config_static_selectorELNS0_4arch9wavefront6targetE0EEEvSP_
                                        ; -- End function
	.set _ZN7rocprim17ROCPRIM_400000_NS6detail17trampoline_kernelINS0_14default_configENS1_21merge_config_selectorIiNS0_10empty_typeEEEZNS1_10merge_implIS3_N6thrust23THRUST_200600_302600_NS6detail15normal_iteratorINS9_10device_ptrIKiEEEESF_NSB_INSC_IiEEEEPS5_SI_SI_NS9_4lessIiEEEE10hipError_tPvRmT0_T1_T2_T3_T4_T5_mmT6_P12ihipStream_tbEUlT_E0_NS1_11comp_targetILNS1_3genE10ELNS1_11target_archE1201ELNS1_3gpuE5ELNS1_3repE0EEENS1_30default_config_static_selectorELNS0_4arch9wavefront6targetE0EEEvSP_.num_vgpr, 0
	.set _ZN7rocprim17ROCPRIM_400000_NS6detail17trampoline_kernelINS0_14default_configENS1_21merge_config_selectorIiNS0_10empty_typeEEEZNS1_10merge_implIS3_N6thrust23THRUST_200600_302600_NS6detail15normal_iteratorINS9_10device_ptrIKiEEEESF_NSB_INSC_IiEEEEPS5_SI_SI_NS9_4lessIiEEEE10hipError_tPvRmT0_T1_T2_T3_T4_T5_mmT6_P12ihipStream_tbEUlT_E0_NS1_11comp_targetILNS1_3genE10ELNS1_11target_archE1201ELNS1_3gpuE5ELNS1_3repE0EEENS1_30default_config_static_selectorELNS0_4arch9wavefront6targetE0EEEvSP_.num_agpr, 0
	.set _ZN7rocprim17ROCPRIM_400000_NS6detail17trampoline_kernelINS0_14default_configENS1_21merge_config_selectorIiNS0_10empty_typeEEEZNS1_10merge_implIS3_N6thrust23THRUST_200600_302600_NS6detail15normal_iteratorINS9_10device_ptrIKiEEEESF_NSB_INSC_IiEEEEPS5_SI_SI_NS9_4lessIiEEEE10hipError_tPvRmT0_T1_T2_T3_T4_T5_mmT6_P12ihipStream_tbEUlT_E0_NS1_11comp_targetILNS1_3genE10ELNS1_11target_archE1201ELNS1_3gpuE5ELNS1_3repE0EEENS1_30default_config_static_selectorELNS0_4arch9wavefront6targetE0EEEvSP_.numbered_sgpr, 0
	.set _ZN7rocprim17ROCPRIM_400000_NS6detail17trampoline_kernelINS0_14default_configENS1_21merge_config_selectorIiNS0_10empty_typeEEEZNS1_10merge_implIS3_N6thrust23THRUST_200600_302600_NS6detail15normal_iteratorINS9_10device_ptrIKiEEEESF_NSB_INSC_IiEEEEPS5_SI_SI_NS9_4lessIiEEEE10hipError_tPvRmT0_T1_T2_T3_T4_T5_mmT6_P12ihipStream_tbEUlT_E0_NS1_11comp_targetILNS1_3genE10ELNS1_11target_archE1201ELNS1_3gpuE5ELNS1_3repE0EEENS1_30default_config_static_selectorELNS0_4arch9wavefront6targetE0EEEvSP_.num_named_barrier, 0
	.set _ZN7rocprim17ROCPRIM_400000_NS6detail17trampoline_kernelINS0_14default_configENS1_21merge_config_selectorIiNS0_10empty_typeEEEZNS1_10merge_implIS3_N6thrust23THRUST_200600_302600_NS6detail15normal_iteratorINS9_10device_ptrIKiEEEESF_NSB_INSC_IiEEEEPS5_SI_SI_NS9_4lessIiEEEE10hipError_tPvRmT0_T1_T2_T3_T4_T5_mmT6_P12ihipStream_tbEUlT_E0_NS1_11comp_targetILNS1_3genE10ELNS1_11target_archE1201ELNS1_3gpuE5ELNS1_3repE0EEENS1_30default_config_static_selectorELNS0_4arch9wavefront6targetE0EEEvSP_.private_seg_size, 0
	.set _ZN7rocprim17ROCPRIM_400000_NS6detail17trampoline_kernelINS0_14default_configENS1_21merge_config_selectorIiNS0_10empty_typeEEEZNS1_10merge_implIS3_N6thrust23THRUST_200600_302600_NS6detail15normal_iteratorINS9_10device_ptrIKiEEEESF_NSB_INSC_IiEEEEPS5_SI_SI_NS9_4lessIiEEEE10hipError_tPvRmT0_T1_T2_T3_T4_T5_mmT6_P12ihipStream_tbEUlT_E0_NS1_11comp_targetILNS1_3genE10ELNS1_11target_archE1201ELNS1_3gpuE5ELNS1_3repE0EEENS1_30default_config_static_selectorELNS0_4arch9wavefront6targetE0EEEvSP_.uses_vcc, 0
	.set _ZN7rocprim17ROCPRIM_400000_NS6detail17trampoline_kernelINS0_14default_configENS1_21merge_config_selectorIiNS0_10empty_typeEEEZNS1_10merge_implIS3_N6thrust23THRUST_200600_302600_NS6detail15normal_iteratorINS9_10device_ptrIKiEEEESF_NSB_INSC_IiEEEEPS5_SI_SI_NS9_4lessIiEEEE10hipError_tPvRmT0_T1_T2_T3_T4_T5_mmT6_P12ihipStream_tbEUlT_E0_NS1_11comp_targetILNS1_3genE10ELNS1_11target_archE1201ELNS1_3gpuE5ELNS1_3repE0EEENS1_30default_config_static_selectorELNS0_4arch9wavefront6targetE0EEEvSP_.uses_flat_scratch, 0
	.set _ZN7rocprim17ROCPRIM_400000_NS6detail17trampoline_kernelINS0_14default_configENS1_21merge_config_selectorIiNS0_10empty_typeEEEZNS1_10merge_implIS3_N6thrust23THRUST_200600_302600_NS6detail15normal_iteratorINS9_10device_ptrIKiEEEESF_NSB_INSC_IiEEEEPS5_SI_SI_NS9_4lessIiEEEE10hipError_tPvRmT0_T1_T2_T3_T4_T5_mmT6_P12ihipStream_tbEUlT_E0_NS1_11comp_targetILNS1_3genE10ELNS1_11target_archE1201ELNS1_3gpuE5ELNS1_3repE0EEENS1_30default_config_static_selectorELNS0_4arch9wavefront6targetE0EEEvSP_.has_dyn_sized_stack, 0
	.set _ZN7rocprim17ROCPRIM_400000_NS6detail17trampoline_kernelINS0_14default_configENS1_21merge_config_selectorIiNS0_10empty_typeEEEZNS1_10merge_implIS3_N6thrust23THRUST_200600_302600_NS6detail15normal_iteratorINS9_10device_ptrIKiEEEESF_NSB_INSC_IiEEEEPS5_SI_SI_NS9_4lessIiEEEE10hipError_tPvRmT0_T1_T2_T3_T4_T5_mmT6_P12ihipStream_tbEUlT_E0_NS1_11comp_targetILNS1_3genE10ELNS1_11target_archE1201ELNS1_3gpuE5ELNS1_3repE0EEENS1_30default_config_static_selectorELNS0_4arch9wavefront6targetE0EEEvSP_.has_recursion, 0
	.set _ZN7rocprim17ROCPRIM_400000_NS6detail17trampoline_kernelINS0_14default_configENS1_21merge_config_selectorIiNS0_10empty_typeEEEZNS1_10merge_implIS3_N6thrust23THRUST_200600_302600_NS6detail15normal_iteratorINS9_10device_ptrIKiEEEESF_NSB_INSC_IiEEEEPS5_SI_SI_NS9_4lessIiEEEE10hipError_tPvRmT0_T1_T2_T3_T4_T5_mmT6_P12ihipStream_tbEUlT_E0_NS1_11comp_targetILNS1_3genE10ELNS1_11target_archE1201ELNS1_3gpuE5ELNS1_3repE0EEENS1_30default_config_static_selectorELNS0_4arch9wavefront6targetE0EEEvSP_.has_indirect_call, 0
	.section	.AMDGPU.csdata,"",@progbits
; Kernel info:
; codeLenInByte = 0
; TotalNumSgprs: 0
; NumVgprs: 0
; ScratchSize: 0
; MemoryBound: 0
; FloatMode: 240
; IeeeMode: 1
; LDSByteSize: 0 bytes/workgroup (compile time only)
; SGPRBlocks: 0
; VGPRBlocks: 0
; NumSGPRsForWavesPerEU: 1
; NumVGPRsForWavesPerEU: 1
; Occupancy: 16
; WaveLimiterHint : 0
; COMPUTE_PGM_RSRC2:SCRATCH_EN: 0
; COMPUTE_PGM_RSRC2:USER_SGPR: 6
; COMPUTE_PGM_RSRC2:TRAP_HANDLER: 0
; COMPUTE_PGM_RSRC2:TGID_X_EN: 1
; COMPUTE_PGM_RSRC2:TGID_Y_EN: 0
; COMPUTE_PGM_RSRC2:TGID_Z_EN: 0
; COMPUTE_PGM_RSRC2:TIDIG_COMP_CNT: 0
	.section	.text._ZN7rocprim17ROCPRIM_400000_NS6detail17trampoline_kernelINS0_14default_configENS1_21merge_config_selectorIiNS0_10empty_typeEEEZNS1_10merge_implIS3_N6thrust23THRUST_200600_302600_NS6detail15normal_iteratorINS9_10device_ptrIKiEEEESF_NSB_INSC_IiEEEEPS5_SI_SI_NS9_4lessIiEEEE10hipError_tPvRmT0_T1_T2_T3_T4_T5_mmT6_P12ihipStream_tbEUlT_E0_NS1_11comp_targetILNS1_3genE10ELNS1_11target_archE1200ELNS1_3gpuE4ELNS1_3repE0EEENS1_30default_config_static_selectorELNS0_4arch9wavefront6targetE0EEEvSP_,"axG",@progbits,_ZN7rocprim17ROCPRIM_400000_NS6detail17trampoline_kernelINS0_14default_configENS1_21merge_config_selectorIiNS0_10empty_typeEEEZNS1_10merge_implIS3_N6thrust23THRUST_200600_302600_NS6detail15normal_iteratorINS9_10device_ptrIKiEEEESF_NSB_INSC_IiEEEEPS5_SI_SI_NS9_4lessIiEEEE10hipError_tPvRmT0_T1_T2_T3_T4_T5_mmT6_P12ihipStream_tbEUlT_E0_NS1_11comp_targetILNS1_3genE10ELNS1_11target_archE1200ELNS1_3gpuE4ELNS1_3repE0EEENS1_30default_config_static_selectorELNS0_4arch9wavefront6targetE0EEEvSP_,comdat
	.protected	_ZN7rocprim17ROCPRIM_400000_NS6detail17trampoline_kernelINS0_14default_configENS1_21merge_config_selectorIiNS0_10empty_typeEEEZNS1_10merge_implIS3_N6thrust23THRUST_200600_302600_NS6detail15normal_iteratorINS9_10device_ptrIKiEEEESF_NSB_INSC_IiEEEEPS5_SI_SI_NS9_4lessIiEEEE10hipError_tPvRmT0_T1_T2_T3_T4_T5_mmT6_P12ihipStream_tbEUlT_E0_NS1_11comp_targetILNS1_3genE10ELNS1_11target_archE1200ELNS1_3gpuE4ELNS1_3repE0EEENS1_30default_config_static_selectorELNS0_4arch9wavefront6targetE0EEEvSP_ ; -- Begin function _ZN7rocprim17ROCPRIM_400000_NS6detail17trampoline_kernelINS0_14default_configENS1_21merge_config_selectorIiNS0_10empty_typeEEEZNS1_10merge_implIS3_N6thrust23THRUST_200600_302600_NS6detail15normal_iteratorINS9_10device_ptrIKiEEEESF_NSB_INSC_IiEEEEPS5_SI_SI_NS9_4lessIiEEEE10hipError_tPvRmT0_T1_T2_T3_T4_T5_mmT6_P12ihipStream_tbEUlT_E0_NS1_11comp_targetILNS1_3genE10ELNS1_11target_archE1200ELNS1_3gpuE4ELNS1_3repE0EEENS1_30default_config_static_selectorELNS0_4arch9wavefront6targetE0EEEvSP_
	.globl	_ZN7rocprim17ROCPRIM_400000_NS6detail17trampoline_kernelINS0_14default_configENS1_21merge_config_selectorIiNS0_10empty_typeEEEZNS1_10merge_implIS3_N6thrust23THRUST_200600_302600_NS6detail15normal_iteratorINS9_10device_ptrIKiEEEESF_NSB_INSC_IiEEEEPS5_SI_SI_NS9_4lessIiEEEE10hipError_tPvRmT0_T1_T2_T3_T4_T5_mmT6_P12ihipStream_tbEUlT_E0_NS1_11comp_targetILNS1_3genE10ELNS1_11target_archE1200ELNS1_3gpuE4ELNS1_3repE0EEENS1_30default_config_static_selectorELNS0_4arch9wavefront6targetE0EEEvSP_
	.p2align	8
	.type	_ZN7rocprim17ROCPRIM_400000_NS6detail17trampoline_kernelINS0_14default_configENS1_21merge_config_selectorIiNS0_10empty_typeEEEZNS1_10merge_implIS3_N6thrust23THRUST_200600_302600_NS6detail15normal_iteratorINS9_10device_ptrIKiEEEESF_NSB_INSC_IiEEEEPS5_SI_SI_NS9_4lessIiEEEE10hipError_tPvRmT0_T1_T2_T3_T4_T5_mmT6_P12ihipStream_tbEUlT_E0_NS1_11comp_targetILNS1_3genE10ELNS1_11target_archE1200ELNS1_3gpuE4ELNS1_3repE0EEENS1_30default_config_static_selectorELNS0_4arch9wavefront6targetE0EEEvSP_,@function
_ZN7rocprim17ROCPRIM_400000_NS6detail17trampoline_kernelINS0_14default_configENS1_21merge_config_selectorIiNS0_10empty_typeEEEZNS1_10merge_implIS3_N6thrust23THRUST_200600_302600_NS6detail15normal_iteratorINS9_10device_ptrIKiEEEESF_NSB_INSC_IiEEEEPS5_SI_SI_NS9_4lessIiEEEE10hipError_tPvRmT0_T1_T2_T3_T4_T5_mmT6_P12ihipStream_tbEUlT_E0_NS1_11comp_targetILNS1_3genE10ELNS1_11target_archE1200ELNS1_3gpuE4ELNS1_3repE0EEENS1_30default_config_static_selectorELNS0_4arch9wavefront6targetE0EEEvSP_: ; @_ZN7rocprim17ROCPRIM_400000_NS6detail17trampoline_kernelINS0_14default_configENS1_21merge_config_selectorIiNS0_10empty_typeEEEZNS1_10merge_implIS3_N6thrust23THRUST_200600_302600_NS6detail15normal_iteratorINS9_10device_ptrIKiEEEESF_NSB_INSC_IiEEEEPS5_SI_SI_NS9_4lessIiEEEE10hipError_tPvRmT0_T1_T2_T3_T4_T5_mmT6_P12ihipStream_tbEUlT_E0_NS1_11comp_targetILNS1_3genE10ELNS1_11target_archE1200ELNS1_3gpuE4ELNS1_3repE0EEENS1_30default_config_static_selectorELNS0_4arch9wavefront6targetE0EEEvSP_
; %bb.0:
	.section	.rodata,"a",@progbits
	.p2align	6, 0x0
	.amdhsa_kernel _ZN7rocprim17ROCPRIM_400000_NS6detail17trampoline_kernelINS0_14default_configENS1_21merge_config_selectorIiNS0_10empty_typeEEEZNS1_10merge_implIS3_N6thrust23THRUST_200600_302600_NS6detail15normal_iteratorINS9_10device_ptrIKiEEEESF_NSB_INSC_IiEEEEPS5_SI_SI_NS9_4lessIiEEEE10hipError_tPvRmT0_T1_T2_T3_T4_T5_mmT6_P12ihipStream_tbEUlT_E0_NS1_11comp_targetILNS1_3genE10ELNS1_11target_archE1200ELNS1_3gpuE4ELNS1_3repE0EEENS1_30default_config_static_selectorELNS0_4arch9wavefront6targetE0EEEvSP_
		.amdhsa_group_segment_fixed_size 0
		.amdhsa_private_segment_fixed_size 0
		.amdhsa_kernarg_size 88
		.amdhsa_user_sgpr_count 6
		.amdhsa_user_sgpr_private_segment_buffer 1
		.amdhsa_user_sgpr_dispatch_ptr 0
		.amdhsa_user_sgpr_queue_ptr 0
		.amdhsa_user_sgpr_kernarg_segment_ptr 1
		.amdhsa_user_sgpr_dispatch_id 0
		.amdhsa_user_sgpr_flat_scratch_init 0
		.amdhsa_user_sgpr_private_segment_size 0
		.amdhsa_wavefront_size32 1
		.amdhsa_uses_dynamic_stack 0
		.amdhsa_system_sgpr_private_segment_wavefront_offset 0
		.amdhsa_system_sgpr_workgroup_id_x 1
		.amdhsa_system_sgpr_workgroup_id_y 0
		.amdhsa_system_sgpr_workgroup_id_z 0
		.amdhsa_system_sgpr_workgroup_info 0
		.amdhsa_system_vgpr_workitem_id 0
		.amdhsa_next_free_vgpr 1
		.amdhsa_next_free_sgpr 1
		.amdhsa_reserve_vcc 0
		.amdhsa_reserve_flat_scratch 0
		.amdhsa_float_round_mode_32 0
		.amdhsa_float_round_mode_16_64 0
		.amdhsa_float_denorm_mode_32 3
		.amdhsa_float_denorm_mode_16_64 3
		.amdhsa_dx10_clamp 1
		.amdhsa_ieee_mode 1
		.amdhsa_fp16_overflow 0
		.amdhsa_workgroup_processor_mode 1
		.amdhsa_memory_ordered 1
		.amdhsa_forward_progress 1
		.amdhsa_shared_vgpr_count 0
		.amdhsa_exception_fp_ieee_invalid_op 0
		.amdhsa_exception_fp_denorm_src 0
		.amdhsa_exception_fp_ieee_div_zero 0
		.amdhsa_exception_fp_ieee_overflow 0
		.amdhsa_exception_fp_ieee_underflow 0
		.amdhsa_exception_fp_ieee_inexact 0
		.amdhsa_exception_int_div_zero 0
	.end_amdhsa_kernel
	.section	.text._ZN7rocprim17ROCPRIM_400000_NS6detail17trampoline_kernelINS0_14default_configENS1_21merge_config_selectorIiNS0_10empty_typeEEEZNS1_10merge_implIS3_N6thrust23THRUST_200600_302600_NS6detail15normal_iteratorINS9_10device_ptrIKiEEEESF_NSB_INSC_IiEEEEPS5_SI_SI_NS9_4lessIiEEEE10hipError_tPvRmT0_T1_T2_T3_T4_T5_mmT6_P12ihipStream_tbEUlT_E0_NS1_11comp_targetILNS1_3genE10ELNS1_11target_archE1200ELNS1_3gpuE4ELNS1_3repE0EEENS1_30default_config_static_selectorELNS0_4arch9wavefront6targetE0EEEvSP_,"axG",@progbits,_ZN7rocprim17ROCPRIM_400000_NS6detail17trampoline_kernelINS0_14default_configENS1_21merge_config_selectorIiNS0_10empty_typeEEEZNS1_10merge_implIS3_N6thrust23THRUST_200600_302600_NS6detail15normal_iteratorINS9_10device_ptrIKiEEEESF_NSB_INSC_IiEEEEPS5_SI_SI_NS9_4lessIiEEEE10hipError_tPvRmT0_T1_T2_T3_T4_T5_mmT6_P12ihipStream_tbEUlT_E0_NS1_11comp_targetILNS1_3genE10ELNS1_11target_archE1200ELNS1_3gpuE4ELNS1_3repE0EEENS1_30default_config_static_selectorELNS0_4arch9wavefront6targetE0EEEvSP_,comdat
.Lfunc_end16:
	.size	_ZN7rocprim17ROCPRIM_400000_NS6detail17trampoline_kernelINS0_14default_configENS1_21merge_config_selectorIiNS0_10empty_typeEEEZNS1_10merge_implIS3_N6thrust23THRUST_200600_302600_NS6detail15normal_iteratorINS9_10device_ptrIKiEEEESF_NSB_INSC_IiEEEEPS5_SI_SI_NS9_4lessIiEEEE10hipError_tPvRmT0_T1_T2_T3_T4_T5_mmT6_P12ihipStream_tbEUlT_E0_NS1_11comp_targetILNS1_3genE10ELNS1_11target_archE1200ELNS1_3gpuE4ELNS1_3repE0EEENS1_30default_config_static_selectorELNS0_4arch9wavefront6targetE0EEEvSP_, .Lfunc_end16-_ZN7rocprim17ROCPRIM_400000_NS6detail17trampoline_kernelINS0_14default_configENS1_21merge_config_selectorIiNS0_10empty_typeEEEZNS1_10merge_implIS3_N6thrust23THRUST_200600_302600_NS6detail15normal_iteratorINS9_10device_ptrIKiEEEESF_NSB_INSC_IiEEEEPS5_SI_SI_NS9_4lessIiEEEE10hipError_tPvRmT0_T1_T2_T3_T4_T5_mmT6_P12ihipStream_tbEUlT_E0_NS1_11comp_targetILNS1_3genE10ELNS1_11target_archE1200ELNS1_3gpuE4ELNS1_3repE0EEENS1_30default_config_static_selectorELNS0_4arch9wavefront6targetE0EEEvSP_
                                        ; -- End function
	.set _ZN7rocprim17ROCPRIM_400000_NS6detail17trampoline_kernelINS0_14default_configENS1_21merge_config_selectorIiNS0_10empty_typeEEEZNS1_10merge_implIS3_N6thrust23THRUST_200600_302600_NS6detail15normal_iteratorINS9_10device_ptrIKiEEEESF_NSB_INSC_IiEEEEPS5_SI_SI_NS9_4lessIiEEEE10hipError_tPvRmT0_T1_T2_T3_T4_T5_mmT6_P12ihipStream_tbEUlT_E0_NS1_11comp_targetILNS1_3genE10ELNS1_11target_archE1200ELNS1_3gpuE4ELNS1_3repE0EEENS1_30default_config_static_selectorELNS0_4arch9wavefront6targetE0EEEvSP_.num_vgpr, 0
	.set _ZN7rocprim17ROCPRIM_400000_NS6detail17trampoline_kernelINS0_14default_configENS1_21merge_config_selectorIiNS0_10empty_typeEEEZNS1_10merge_implIS3_N6thrust23THRUST_200600_302600_NS6detail15normal_iteratorINS9_10device_ptrIKiEEEESF_NSB_INSC_IiEEEEPS5_SI_SI_NS9_4lessIiEEEE10hipError_tPvRmT0_T1_T2_T3_T4_T5_mmT6_P12ihipStream_tbEUlT_E0_NS1_11comp_targetILNS1_3genE10ELNS1_11target_archE1200ELNS1_3gpuE4ELNS1_3repE0EEENS1_30default_config_static_selectorELNS0_4arch9wavefront6targetE0EEEvSP_.num_agpr, 0
	.set _ZN7rocprim17ROCPRIM_400000_NS6detail17trampoline_kernelINS0_14default_configENS1_21merge_config_selectorIiNS0_10empty_typeEEEZNS1_10merge_implIS3_N6thrust23THRUST_200600_302600_NS6detail15normal_iteratorINS9_10device_ptrIKiEEEESF_NSB_INSC_IiEEEEPS5_SI_SI_NS9_4lessIiEEEE10hipError_tPvRmT0_T1_T2_T3_T4_T5_mmT6_P12ihipStream_tbEUlT_E0_NS1_11comp_targetILNS1_3genE10ELNS1_11target_archE1200ELNS1_3gpuE4ELNS1_3repE0EEENS1_30default_config_static_selectorELNS0_4arch9wavefront6targetE0EEEvSP_.numbered_sgpr, 0
	.set _ZN7rocprim17ROCPRIM_400000_NS6detail17trampoline_kernelINS0_14default_configENS1_21merge_config_selectorIiNS0_10empty_typeEEEZNS1_10merge_implIS3_N6thrust23THRUST_200600_302600_NS6detail15normal_iteratorINS9_10device_ptrIKiEEEESF_NSB_INSC_IiEEEEPS5_SI_SI_NS9_4lessIiEEEE10hipError_tPvRmT0_T1_T2_T3_T4_T5_mmT6_P12ihipStream_tbEUlT_E0_NS1_11comp_targetILNS1_3genE10ELNS1_11target_archE1200ELNS1_3gpuE4ELNS1_3repE0EEENS1_30default_config_static_selectorELNS0_4arch9wavefront6targetE0EEEvSP_.num_named_barrier, 0
	.set _ZN7rocprim17ROCPRIM_400000_NS6detail17trampoline_kernelINS0_14default_configENS1_21merge_config_selectorIiNS0_10empty_typeEEEZNS1_10merge_implIS3_N6thrust23THRUST_200600_302600_NS6detail15normal_iteratorINS9_10device_ptrIKiEEEESF_NSB_INSC_IiEEEEPS5_SI_SI_NS9_4lessIiEEEE10hipError_tPvRmT0_T1_T2_T3_T4_T5_mmT6_P12ihipStream_tbEUlT_E0_NS1_11comp_targetILNS1_3genE10ELNS1_11target_archE1200ELNS1_3gpuE4ELNS1_3repE0EEENS1_30default_config_static_selectorELNS0_4arch9wavefront6targetE0EEEvSP_.private_seg_size, 0
	.set _ZN7rocprim17ROCPRIM_400000_NS6detail17trampoline_kernelINS0_14default_configENS1_21merge_config_selectorIiNS0_10empty_typeEEEZNS1_10merge_implIS3_N6thrust23THRUST_200600_302600_NS6detail15normal_iteratorINS9_10device_ptrIKiEEEESF_NSB_INSC_IiEEEEPS5_SI_SI_NS9_4lessIiEEEE10hipError_tPvRmT0_T1_T2_T3_T4_T5_mmT6_P12ihipStream_tbEUlT_E0_NS1_11comp_targetILNS1_3genE10ELNS1_11target_archE1200ELNS1_3gpuE4ELNS1_3repE0EEENS1_30default_config_static_selectorELNS0_4arch9wavefront6targetE0EEEvSP_.uses_vcc, 0
	.set _ZN7rocprim17ROCPRIM_400000_NS6detail17trampoline_kernelINS0_14default_configENS1_21merge_config_selectorIiNS0_10empty_typeEEEZNS1_10merge_implIS3_N6thrust23THRUST_200600_302600_NS6detail15normal_iteratorINS9_10device_ptrIKiEEEESF_NSB_INSC_IiEEEEPS5_SI_SI_NS9_4lessIiEEEE10hipError_tPvRmT0_T1_T2_T3_T4_T5_mmT6_P12ihipStream_tbEUlT_E0_NS1_11comp_targetILNS1_3genE10ELNS1_11target_archE1200ELNS1_3gpuE4ELNS1_3repE0EEENS1_30default_config_static_selectorELNS0_4arch9wavefront6targetE0EEEvSP_.uses_flat_scratch, 0
	.set _ZN7rocprim17ROCPRIM_400000_NS6detail17trampoline_kernelINS0_14default_configENS1_21merge_config_selectorIiNS0_10empty_typeEEEZNS1_10merge_implIS3_N6thrust23THRUST_200600_302600_NS6detail15normal_iteratorINS9_10device_ptrIKiEEEESF_NSB_INSC_IiEEEEPS5_SI_SI_NS9_4lessIiEEEE10hipError_tPvRmT0_T1_T2_T3_T4_T5_mmT6_P12ihipStream_tbEUlT_E0_NS1_11comp_targetILNS1_3genE10ELNS1_11target_archE1200ELNS1_3gpuE4ELNS1_3repE0EEENS1_30default_config_static_selectorELNS0_4arch9wavefront6targetE0EEEvSP_.has_dyn_sized_stack, 0
	.set _ZN7rocprim17ROCPRIM_400000_NS6detail17trampoline_kernelINS0_14default_configENS1_21merge_config_selectorIiNS0_10empty_typeEEEZNS1_10merge_implIS3_N6thrust23THRUST_200600_302600_NS6detail15normal_iteratorINS9_10device_ptrIKiEEEESF_NSB_INSC_IiEEEEPS5_SI_SI_NS9_4lessIiEEEE10hipError_tPvRmT0_T1_T2_T3_T4_T5_mmT6_P12ihipStream_tbEUlT_E0_NS1_11comp_targetILNS1_3genE10ELNS1_11target_archE1200ELNS1_3gpuE4ELNS1_3repE0EEENS1_30default_config_static_selectorELNS0_4arch9wavefront6targetE0EEEvSP_.has_recursion, 0
	.set _ZN7rocprim17ROCPRIM_400000_NS6detail17trampoline_kernelINS0_14default_configENS1_21merge_config_selectorIiNS0_10empty_typeEEEZNS1_10merge_implIS3_N6thrust23THRUST_200600_302600_NS6detail15normal_iteratorINS9_10device_ptrIKiEEEESF_NSB_INSC_IiEEEEPS5_SI_SI_NS9_4lessIiEEEE10hipError_tPvRmT0_T1_T2_T3_T4_T5_mmT6_P12ihipStream_tbEUlT_E0_NS1_11comp_targetILNS1_3genE10ELNS1_11target_archE1200ELNS1_3gpuE4ELNS1_3repE0EEENS1_30default_config_static_selectorELNS0_4arch9wavefront6targetE0EEEvSP_.has_indirect_call, 0
	.section	.AMDGPU.csdata,"",@progbits
; Kernel info:
; codeLenInByte = 0
; TotalNumSgprs: 0
; NumVgprs: 0
; ScratchSize: 0
; MemoryBound: 0
; FloatMode: 240
; IeeeMode: 1
; LDSByteSize: 0 bytes/workgroup (compile time only)
; SGPRBlocks: 0
; VGPRBlocks: 0
; NumSGPRsForWavesPerEU: 1
; NumVGPRsForWavesPerEU: 1
; Occupancy: 16
; WaveLimiterHint : 0
; COMPUTE_PGM_RSRC2:SCRATCH_EN: 0
; COMPUTE_PGM_RSRC2:USER_SGPR: 6
; COMPUTE_PGM_RSRC2:TRAP_HANDLER: 0
; COMPUTE_PGM_RSRC2:TGID_X_EN: 1
; COMPUTE_PGM_RSRC2:TGID_Y_EN: 0
; COMPUTE_PGM_RSRC2:TGID_Z_EN: 0
; COMPUTE_PGM_RSRC2:TIDIG_COMP_CNT: 0
	.section	.text._ZN7rocprim17ROCPRIM_400000_NS6detail17trampoline_kernelINS0_14default_configENS1_21merge_config_selectorIiNS0_10empty_typeEEEZNS1_10merge_implIS3_N6thrust23THRUST_200600_302600_NS6detail15normal_iteratorINS9_10device_ptrIKiEEEESF_NSB_INSC_IiEEEEPS5_SI_SI_NS9_4lessIiEEEE10hipError_tPvRmT0_T1_T2_T3_T4_T5_mmT6_P12ihipStream_tbEUlT_E0_NS1_11comp_targetILNS1_3genE9ELNS1_11target_archE1100ELNS1_3gpuE3ELNS1_3repE0EEENS1_30default_config_static_selectorELNS0_4arch9wavefront6targetE0EEEvSP_,"axG",@progbits,_ZN7rocprim17ROCPRIM_400000_NS6detail17trampoline_kernelINS0_14default_configENS1_21merge_config_selectorIiNS0_10empty_typeEEEZNS1_10merge_implIS3_N6thrust23THRUST_200600_302600_NS6detail15normal_iteratorINS9_10device_ptrIKiEEEESF_NSB_INSC_IiEEEEPS5_SI_SI_NS9_4lessIiEEEE10hipError_tPvRmT0_T1_T2_T3_T4_T5_mmT6_P12ihipStream_tbEUlT_E0_NS1_11comp_targetILNS1_3genE9ELNS1_11target_archE1100ELNS1_3gpuE3ELNS1_3repE0EEENS1_30default_config_static_selectorELNS0_4arch9wavefront6targetE0EEEvSP_,comdat
	.protected	_ZN7rocprim17ROCPRIM_400000_NS6detail17trampoline_kernelINS0_14default_configENS1_21merge_config_selectorIiNS0_10empty_typeEEEZNS1_10merge_implIS3_N6thrust23THRUST_200600_302600_NS6detail15normal_iteratorINS9_10device_ptrIKiEEEESF_NSB_INSC_IiEEEEPS5_SI_SI_NS9_4lessIiEEEE10hipError_tPvRmT0_T1_T2_T3_T4_T5_mmT6_P12ihipStream_tbEUlT_E0_NS1_11comp_targetILNS1_3genE9ELNS1_11target_archE1100ELNS1_3gpuE3ELNS1_3repE0EEENS1_30default_config_static_selectorELNS0_4arch9wavefront6targetE0EEEvSP_ ; -- Begin function _ZN7rocprim17ROCPRIM_400000_NS6detail17trampoline_kernelINS0_14default_configENS1_21merge_config_selectorIiNS0_10empty_typeEEEZNS1_10merge_implIS3_N6thrust23THRUST_200600_302600_NS6detail15normal_iteratorINS9_10device_ptrIKiEEEESF_NSB_INSC_IiEEEEPS5_SI_SI_NS9_4lessIiEEEE10hipError_tPvRmT0_T1_T2_T3_T4_T5_mmT6_P12ihipStream_tbEUlT_E0_NS1_11comp_targetILNS1_3genE9ELNS1_11target_archE1100ELNS1_3gpuE3ELNS1_3repE0EEENS1_30default_config_static_selectorELNS0_4arch9wavefront6targetE0EEEvSP_
	.globl	_ZN7rocprim17ROCPRIM_400000_NS6detail17trampoline_kernelINS0_14default_configENS1_21merge_config_selectorIiNS0_10empty_typeEEEZNS1_10merge_implIS3_N6thrust23THRUST_200600_302600_NS6detail15normal_iteratorINS9_10device_ptrIKiEEEESF_NSB_INSC_IiEEEEPS5_SI_SI_NS9_4lessIiEEEE10hipError_tPvRmT0_T1_T2_T3_T4_T5_mmT6_P12ihipStream_tbEUlT_E0_NS1_11comp_targetILNS1_3genE9ELNS1_11target_archE1100ELNS1_3gpuE3ELNS1_3repE0EEENS1_30default_config_static_selectorELNS0_4arch9wavefront6targetE0EEEvSP_
	.p2align	8
	.type	_ZN7rocprim17ROCPRIM_400000_NS6detail17trampoline_kernelINS0_14default_configENS1_21merge_config_selectorIiNS0_10empty_typeEEEZNS1_10merge_implIS3_N6thrust23THRUST_200600_302600_NS6detail15normal_iteratorINS9_10device_ptrIKiEEEESF_NSB_INSC_IiEEEEPS5_SI_SI_NS9_4lessIiEEEE10hipError_tPvRmT0_T1_T2_T3_T4_T5_mmT6_P12ihipStream_tbEUlT_E0_NS1_11comp_targetILNS1_3genE9ELNS1_11target_archE1100ELNS1_3gpuE3ELNS1_3repE0EEENS1_30default_config_static_selectorELNS0_4arch9wavefront6targetE0EEEvSP_,@function
_ZN7rocprim17ROCPRIM_400000_NS6detail17trampoline_kernelINS0_14default_configENS1_21merge_config_selectorIiNS0_10empty_typeEEEZNS1_10merge_implIS3_N6thrust23THRUST_200600_302600_NS6detail15normal_iteratorINS9_10device_ptrIKiEEEESF_NSB_INSC_IiEEEEPS5_SI_SI_NS9_4lessIiEEEE10hipError_tPvRmT0_T1_T2_T3_T4_T5_mmT6_P12ihipStream_tbEUlT_E0_NS1_11comp_targetILNS1_3genE9ELNS1_11target_archE1100ELNS1_3gpuE3ELNS1_3repE0EEENS1_30default_config_static_selectorELNS0_4arch9wavefront6targetE0EEEvSP_: ; @_ZN7rocprim17ROCPRIM_400000_NS6detail17trampoline_kernelINS0_14default_configENS1_21merge_config_selectorIiNS0_10empty_typeEEEZNS1_10merge_implIS3_N6thrust23THRUST_200600_302600_NS6detail15normal_iteratorINS9_10device_ptrIKiEEEESF_NSB_INSC_IiEEEEPS5_SI_SI_NS9_4lessIiEEEE10hipError_tPvRmT0_T1_T2_T3_T4_T5_mmT6_P12ihipStream_tbEUlT_E0_NS1_11comp_targetILNS1_3genE9ELNS1_11target_archE1100ELNS1_3gpuE3ELNS1_3repE0EEENS1_30default_config_static_selectorELNS0_4arch9wavefront6targetE0EEEvSP_
; %bb.0:
	.section	.rodata,"a",@progbits
	.p2align	6, 0x0
	.amdhsa_kernel _ZN7rocprim17ROCPRIM_400000_NS6detail17trampoline_kernelINS0_14default_configENS1_21merge_config_selectorIiNS0_10empty_typeEEEZNS1_10merge_implIS3_N6thrust23THRUST_200600_302600_NS6detail15normal_iteratorINS9_10device_ptrIKiEEEESF_NSB_INSC_IiEEEEPS5_SI_SI_NS9_4lessIiEEEE10hipError_tPvRmT0_T1_T2_T3_T4_T5_mmT6_P12ihipStream_tbEUlT_E0_NS1_11comp_targetILNS1_3genE9ELNS1_11target_archE1100ELNS1_3gpuE3ELNS1_3repE0EEENS1_30default_config_static_selectorELNS0_4arch9wavefront6targetE0EEEvSP_
		.amdhsa_group_segment_fixed_size 0
		.amdhsa_private_segment_fixed_size 0
		.amdhsa_kernarg_size 88
		.amdhsa_user_sgpr_count 6
		.amdhsa_user_sgpr_private_segment_buffer 1
		.amdhsa_user_sgpr_dispatch_ptr 0
		.amdhsa_user_sgpr_queue_ptr 0
		.amdhsa_user_sgpr_kernarg_segment_ptr 1
		.amdhsa_user_sgpr_dispatch_id 0
		.amdhsa_user_sgpr_flat_scratch_init 0
		.amdhsa_user_sgpr_private_segment_size 0
		.amdhsa_wavefront_size32 1
		.amdhsa_uses_dynamic_stack 0
		.amdhsa_system_sgpr_private_segment_wavefront_offset 0
		.amdhsa_system_sgpr_workgroup_id_x 1
		.amdhsa_system_sgpr_workgroup_id_y 0
		.amdhsa_system_sgpr_workgroup_id_z 0
		.amdhsa_system_sgpr_workgroup_info 0
		.amdhsa_system_vgpr_workitem_id 0
		.amdhsa_next_free_vgpr 1
		.amdhsa_next_free_sgpr 1
		.amdhsa_reserve_vcc 0
		.amdhsa_reserve_flat_scratch 0
		.amdhsa_float_round_mode_32 0
		.amdhsa_float_round_mode_16_64 0
		.amdhsa_float_denorm_mode_32 3
		.amdhsa_float_denorm_mode_16_64 3
		.amdhsa_dx10_clamp 1
		.amdhsa_ieee_mode 1
		.amdhsa_fp16_overflow 0
		.amdhsa_workgroup_processor_mode 1
		.amdhsa_memory_ordered 1
		.amdhsa_forward_progress 1
		.amdhsa_shared_vgpr_count 0
		.amdhsa_exception_fp_ieee_invalid_op 0
		.amdhsa_exception_fp_denorm_src 0
		.amdhsa_exception_fp_ieee_div_zero 0
		.amdhsa_exception_fp_ieee_overflow 0
		.amdhsa_exception_fp_ieee_underflow 0
		.amdhsa_exception_fp_ieee_inexact 0
		.amdhsa_exception_int_div_zero 0
	.end_amdhsa_kernel
	.section	.text._ZN7rocprim17ROCPRIM_400000_NS6detail17trampoline_kernelINS0_14default_configENS1_21merge_config_selectorIiNS0_10empty_typeEEEZNS1_10merge_implIS3_N6thrust23THRUST_200600_302600_NS6detail15normal_iteratorINS9_10device_ptrIKiEEEESF_NSB_INSC_IiEEEEPS5_SI_SI_NS9_4lessIiEEEE10hipError_tPvRmT0_T1_T2_T3_T4_T5_mmT6_P12ihipStream_tbEUlT_E0_NS1_11comp_targetILNS1_3genE9ELNS1_11target_archE1100ELNS1_3gpuE3ELNS1_3repE0EEENS1_30default_config_static_selectorELNS0_4arch9wavefront6targetE0EEEvSP_,"axG",@progbits,_ZN7rocprim17ROCPRIM_400000_NS6detail17trampoline_kernelINS0_14default_configENS1_21merge_config_selectorIiNS0_10empty_typeEEEZNS1_10merge_implIS3_N6thrust23THRUST_200600_302600_NS6detail15normal_iteratorINS9_10device_ptrIKiEEEESF_NSB_INSC_IiEEEEPS5_SI_SI_NS9_4lessIiEEEE10hipError_tPvRmT0_T1_T2_T3_T4_T5_mmT6_P12ihipStream_tbEUlT_E0_NS1_11comp_targetILNS1_3genE9ELNS1_11target_archE1100ELNS1_3gpuE3ELNS1_3repE0EEENS1_30default_config_static_selectorELNS0_4arch9wavefront6targetE0EEEvSP_,comdat
.Lfunc_end17:
	.size	_ZN7rocprim17ROCPRIM_400000_NS6detail17trampoline_kernelINS0_14default_configENS1_21merge_config_selectorIiNS0_10empty_typeEEEZNS1_10merge_implIS3_N6thrust23THRUST_200600_302600_NS6detail15normal_iteratorINS9_10device_ptrIKiEEEESF_NSB_INSC_IiEEEEPS5_SI_SI_NS9_4lessIiEEEE10hipError_tPvRmT0_T1_T2_T3_T4_T5_mmT6_P12ihipStream_tbEUlT_E0_NS1_11comp_targetILNS1_3genE9ELNS1_11target_archE1100ELNS1_3gpuE3ELNS1_3repE0EEENS1_30default_config_static_selectorELNS0_4arch9wavefront6targetE0EEEvSP_, .Lfunc_end17-_ZN7rocprim17ROCPRIM_400000_NS6detail17trampoline_kernelINS0_14default_configENS1_21merge_config_selectorIiNS0_10empty_typeEEEZNS1_10merge_implIS3_N6thrust23THRUST_200600_302600_NS6detail15normal_iteratorINS9_10device_ptrIKiEEEESF_NSB_INSC_IiEEEEPS5_SI_SI_NS9_4lessIiEEEE10hipError_tPvRmT0_T1_T2_T3_T4_T5_mmT6_P12ihipStream_tbEUlT_E0_NS1_11comp_targetILNS1_3genE9ELNS1_11target_archE1100ELNS1_3gpuE3ELNS1_3repE0EEENS1_30default_config_static_selectorELNS0_4arch9wavefront6targetE0EEEvSP_
                                        ; -- End function
	.set _ZN7rocprim17ROCPRIM_400000_NS6detail17trampoline_kernelINS0_14default_configENS1_21merge_config_selectorIiNS0_10empty_typeEEEZNS1_10merge_implIS3_N6thrust23THRUST_200600_302600_NS6detail15normal_iteratorINS9_10device_ptrIKiEEEESF_NSB_INSC_IiEEEEPS5_SI_SI_NS9_4lessIiEEEE10hipError_tPvRmT0_T1_T2_T3_T4_T5_mmT6_P12ihipStream_tbEUlT_E0_NS1_11comp_targetILNS1_3genE9ELNS1_11target_archE1100ELNS1_3gpuE3ELNS1_3repE0EEENS1_30default_config_static_selectorELNS0_4arch9wavefront6targetE0EEEvSP_.num_vgpr, 0
	.set _ZN7rocprim17ROCPRIM_400000_NS6detail17trampoline_kernelINS0_14default_configENS1_21merge_config_selectorIiNS0_10empty_typeEEEZNS1_10merge_implIS3_N6thrust23THRUST_200600_302600_NS6detail15normal_iteratorINS9_10device_ptrIKiEEEESF_NSB_INSC_IiEEEEPS5_SI_SI_NS9_4lessIiEEEE10hipError_tPvRmT0_T1_T2_T3_T4_T5_mmT6_P12ihipStream_tbEUlT_E0_NS1_11comp_targetILNS1_3genE9ELNS1_11target_archE1100ELNS1_3gpuE3ELNS1_3repE0EEENS1_30default_config_static_selectorELNS0_4arch9wavefront6targetE0EEEvSP_.num_agpr, 0
	.set _ZN7rocprim17ROCPRIM_400000_NS6detail17trampoline_kernelINS0_14default_configENS1_21merge_config_selectorIiNS0_10empty_typeEEEZNS1_10merge_implIS3_N6thrust23THRUST_200600_302600_NS6detail15normal_iteratorINS9_10device_ptrIKiEEEESF_NSB_INSC_IiEEEEPS5_SI_SI_NS9_4lessIiEEEE10hipError_tPvRmT0_T1_T2_T3_T4_T5_mmT6_P12ihipStream_tbEUlT_E0_NS1_11comp_targetILNS1_3genE9ELNS1_11target_archE1100ELNS1_3gpuE3ELNS1_3repE0EEENS1_30default_config_static_selectorELNS0_4arch9wavefront6targetE0EEEvSP_.numbered_sgpr, 0
	.set _ZN7rocprim17ROCPRIM_400000_NS6detail17trampoline_kernelINS0_14default_configENS1_21merge_config_selectorIiNS0_10empty_typeEEEZNS1_10merge_implIS3_N6thrust23THRUST_200600_302600_NS6detail15normal_iteratorINS9_10device_ptrIKiEEEESF_NSB_INSC_IiEEEEPS5_SI_SI_NS9_4lessIiEEEE10hipError_tPvRmT0_T1_T2_T3_T4_T5_mmT6_P12ihipStream_tbEUlT_E0_NS1_11comp_targetILNS1_3genE9ELNS1_11target_archE1100ELNS1_3gpuE3ELNS1_3repE0EEENS1_30default_config_static_selectorELNS0_4arch9wavefront6targetE0EEEvSP_.num_named_barrier, 0
	.set _ZN7rocprim17ROCPRIM_400000_NS6detail17trampoline_kernelINS0_14default_configENS1_21merge_config_selectorIiNS0_10empty_typeEEEZNS1_10merge_implIS3_N6thrust23THRUST_200600_302600_NS6detail15normal_iteratorINS9_10device_ptrIKiEEEESF_NSB_INSC_IiEEEEPS5_SI_SI_NS9_4lessIiEEEE10hipError_tPvRmT0_T1_T2_T3_T4_T5_mmT6_P12ihipStream_tbEUlT_E0_NS1_11comp_targetILNS1_3genE9ELNS1_11target_archE1100ELNS1_3gpuE3ELNS1_3repE0EEENS1_30default_config_static_selectorELNS0_4arch9wavefront6targetE0EEEvSP_.private_seg_size, 0
	.set _ZN7rocprim17ROCPRIM_400000_NS6detail17trampoline_kernelINS0_14default_configENS1_21merge_config_selectorIiNS0_10empty_typeEEEZNS1_10merge_implIS3_N6thrust23THRUST_200600_302600_NS6detail15normal_iteratorINS9_10device_ptrIKiEEEESF_NSB_INSC_IiEEEEPS5_SI_SI_NS9_4lessIiEEEE10hipError_tPvRmT0_T1_T2_T3_T4_T5_mmT6_P12ihipStream_tbEUlT_E0_NS1_11comp_targetILNS1_3genE9ELNS1_11target_archE1100ELNS1_3gpuE3ELNS1_3repE0EEENS1_30default_config_static_selectorELNS0_4arch9wavefront6targetE0EEEvSP_.uses_vcc, 0
	.set _ZN7rocprim17ROCPRIM_400000_NS6detail17trampoline_kernelINS0_14default_configENS1_21merge_config_selectorIiNS0_10empty_typeEEEZNS1_10merge_implIS3_N6thrust23THRUST_200600_302600_NS6detail15normal_iteratorINS9_10device_ptrIKiEEEESF_NSB_INSC_IiEEEEPS5_SI_SI_NS9_4lessIiEEEE10hipError_tPvRmT0_T1_T2_T3_T4_T5_mmT6_P12ihipStream_tbEUlT_E0_NS1_11comp_targetILNS1_3genE9ELNS1_11target_archE1100ELNS1_3gpuE3ELNS1_3repE0EEENS1_30default_config_static_selectorELNS0_4arch9wavefront6targetE0EEEvSP_.uses_flat_scratch, 0
	.set _ZN7rocprim17ROCPRIM_400000_NS6detail17trampoline_kernelINS0_14default_configENS1_21merge_config_selectorIiNS0_10empty_typeEEEZNS1_10merge_implIS3_N6thrust23THRUST_200600_302600_NS6detail15normal_iteratorINS9_10device_ptrIKiEEEESF_NSB_INSC_IiEEEEPS5_SI_SI_NS9_4lessIiEEEE10hipError_tPvRmT0_T1_T2_T3_T4_T5_mmT6_P12ihipStream_tbEUlT_E0_NS1_11comp_targetILNS1_3genE9ELNS1_11target_archE1100ELNS1_3gpuE3ELNS1_3repE0EEENS1_30default_config_static_selectorELNS0_4arch9wavefront6targetE0EEEvSP_.has_dyn_sized_stack, 0
	.set _ZN7rocprim17ROCPRIM_400000_NS6detail17trampoline_kernelINS0_14default_configENS1_21merge_config_selectorIiNS0_10empty_typeEEEZNS1_10merge_implIS3_N6thrust23THRUST_200600_302600_NS6detail15normal_iteratorINS9_10device_ptrIKiEEEESF_NSB_INSC_IiEEEEPS5_SI_SI_NS9_4lessIiEEEE10hipError_tPvRmT0_T1_T2_T3_T4_T5_mmT6_P12ihipStream_tbEUlT_E0_NS1_11comp_targetILNS1_3genE9ELNS1_11target_archE1100ELNS1_3gpuE3ELNS1_3repE0EEENS1_30default_config_static_selectorELNS0_4arch9wavefront6targetE0EEEvSP_.has_recursion, 0
	.set _ZN7rocprim17ROCPRIM_400000_NS6detail17trampoline_kernelINS0_14default_configENS1_21merge_config_selectorIiNS0_10empty_typeEEEZNS1_10merge_implIS3_N6thrust23THRUST_200600_302600_NS6detail15normal_iteratorINS9_10device_ptrIKiEEEESF_NSB_INSC_IiEEEEPS5_SI_SI_NS9_4lessIiEEEE10hipError_tPvRmT0_T1_T2_T3_T4_T5_mmT6_P12ihipStream_tbEUlT_E0_NS1_11comp_targetILNS1_3genE9ELNS1_11target_archE1100ELNS1_3gpuE3ELNS1_3repE0EEENS1_30default_config_static_selectorELNS0_4arch9wavefront6targetE0EEEvSP_.has_indirect_call, 0
	.section	.AMDGPU.csdata,"",@progbits
; Kernel info:
; codeLenInByte = 0
; TotalNumSgprs: 0
; NumVgprs: 0
; ScratchSize: 0
; MemoryBound: 0
; FloatMode: 240
; IeeeMode: 1
; LDSByteSize: 0 bytes/workgroup (compile time only)
; SGPRBlocks: 0
; VGPRBlocks: 0
; NumSGPRsForWavesPerEU: 1
; NumVGPRsForWavesPerEU: 1
; Occupancy: 16
; WaveLimiterHint : 0
; COMPUTE_PGM_RSRC2:SCRATCH_EN: 0
; COMPUTE_PGM_RSRC2:USER_SGPR: 6
; COMPUTE_PGM_RSRC2:TRAP_HANDLER: 0
; COMPUTE_PGM_RSRC2:TGID_X_EN: 1
; COMPUTE_PGM_RSRC2:TGID_Y_EN: 0
; COMPUTE_PGM_RSRC2:TGID_Z_EN: 0
; COMPUTE_PGM_RSRC2:TIDIG_COMP_CNT: 0
	.section	.text._ZN7rocprim17ROCPRIM_400000_NS6detail17trampoline_kernelINS0_14default_configENS1_21merge_config_selectorIiNS0_10empty_typeEEEZNS1_10merge_implIS3_N6thrust23THRUST_200600_302600_NS6detail15normal_iteratorINS9_10device_ptrIKiEEEESF_NSB_INSC_IiEEEEPS5_SI_SI_NS9_4lessIiEEEE10hipError_tPvRmT0_T1_T2_T3_T4_T5_mmT6_P12ihipStream_tbEUlT_E0_NS1_11comp_targetILNS1_3genE8ELNS1_11target_archE1030ELNS1_3gpuE2ELNS1_3repE0EEENS1_30default_config_static_selectorELNS0_4arch9wavefront6targetE0EEEvSP_,"axG",@progbits,_ZN7rocprim17ROCPRIM_400000_NS6detail17trampoline_kernelINS0_14default_configENS1_21merge_config_selectorIiNS0_10empty_typeEEEZNS1_10merge_implIS3_N6thrust23THRUST_200600_302600_NS6detail15normal_iteratorINS9_10device_ptrIKiEEEESF_NSB_INSC_IiEEEEPS5_SI_SI_NS9_4lessIiEEEE10hipError_tPvRmT0_T1_T2_T3_T4_T5_mmT6_P12ihipStream_tbEUlT_E0_NS1_11comp_targetILNS1_3genE8ELNS1_11target_archE1030ELNS1_3gpuE2ELNS1_3repE0EEENS1_30default_config_static_selectorELNS0_4arch9wavefront6targetE0EEEvSP_,comdat
	.protected	_ZN7rocprim17ROCPRIM_400000_NS6detail17trampoline_kernelINS0_14default_configENS1_21merge_config_selectorIiNS0_10empty_typeEEEZNS1_10merge_implIS3_N6thrust23THRUST_200600_302600_NS6detail15normal_iteratorINS9_10device_ptrIKiEEEESF_NSB_INSC_IiEEEEPS5_SI_SI_NS9_4lessIiEEEE10hipError_tPvRmT0_T1_T2_T3_T4_T5_mmT6_P12ihipStream_tbEUlT_E0_NS1_11comp_targetILNS1_3genE8ELNS1_11target_archE1030ELNS1_3gpuE2ELNS1_3repE0EEENS1_30default_config_static_selectorELNS0_4arch9wavefront6targetE0EEEvSP_ ; -- Begin function _ZN7rocprim17ROCPRIM_400000_NS6detail17trampoline_kernelINS0_14default_configENS1_21merge_config_selectorIiNS0_10empty_typeEEEZNS1_10merge_implIS3_N6thrust23THRUST_200600_302600_NS6detail15normal_iteratorINS9_10device_ptrIKiEEEESF_NSB_INSC_IiEEEEPS5_SI_SI_NS9_4lessIiEEEE10hipError_tPvRmT0_T1_T2_T3_T4_T5_mmT6_P12ihipStream_tbEUlT_E0_NS1_11comp_targetILNS1_3genE8ELNS1_11target_archE1030ELNS1_3gpuE2ELNS1_3repE0EEENS1_30default_config_static_selectorELNS0_4arch9wavefront6targetE0EEEvSP_
	.globl	_ZN7rocprim17ROCPRIM_400000_NS6detail17trampoline_kernelINS0_14default_configENS1_21merge_config_selectorIiNS0_10empty_typeEEEZNS1_10merge_implIS3_N6thrust23THRUST_200600_302600_NS6detail15normal_iteratorINS9_10device_ptrIKiEEEESF_NSB_INSC_IiEEEEPS5_SI_SI_NS9_4lessIiEEEE10hipError_tPvRmT0_T1_T2_T3_T4_T5_mmT6_P12ihipStream_tbEUlT_E0_NS1_11comp_targetILNS1_3genE8ELNS1_11target_archE1030ELNS1_3gpuE2ELNS1_3repE0EEENS1_30default_config_static_selectorELNS0_4arch9wavefront6targetE0EEEvSP_
	.p2align	8
	.type	_ZN7rocprim17ROCPRIM_400000_NS6detail17trampoline_kernelINS0_14default_configENS1_21merge_config_selectorIiNS0_10empty_typeEEEZNS1_10merge_implIS3_N6thrust23THRUST_200600_302600_NS6detail15normal_iteratorINS9_10device_ptrIKiEEEESF_NSB_INSC_IiEEEEPS5_SI_SI_NS9_4lessIiEEEE10hipError_tPvRmT0_T1_T2_T3_T4_T5_mmT6_P12ihipStream_tbEUlT_E0_NS1_11comp_targetILNS1_3genE8ELNS1_11target_archE1030ELNS1_3gpuE2ELNS1_3repE0EEENS1_30default_config_static_selectorELNS0_4arch9wavefront6targetE0EEEvSP_,@function
_ZN7rocprim17ROCPRIM_400000_NS6detail17trampoline_kernelINS0_14default_configENS1_21merge_config_selectorIiNS0_10empty_typeEEEZNS1_10merge_implIS3_N6thrust23THRUST_200600_302600_NS6detail15normal_iteratorINS9_10device_ptrIKiEEEESF_NSB_INSC_IiEEEEPS5_SI_SI_NS9_4lessIiEEEE10hipError_tPvRmT0_T1_T2_T3_T4_T5_mmT6_P12ihipStream_tbEUlT_E0_NS1_11comp_targetILNS1_3genE8ELNS1_11target_archE1030ELNS1_3gpuE2ELNS1_3repE0EEENS1_30default_config_static_selectorELNS0_4arch9wavefront6targetE0EEEvSP_: ; @_ZN7rocprim17ROCPRIM_400000_NS6detail17trampoline_kernelINS0_14default_configENS1_21merge_config_selectorIiNS0_10empty_typeEEEZNS1_10merge_implIS3_N6thrust23THRUST_200600_302600_NS6detail15normal_iteratorINS9_10device_ptrIKiEEEESF_NSB_INSC_IiEEEEPS5_SI_SI_NS9_4lessIiEEEE10hipError_tPvRmT0_T1_T2_T3_T4_T5_mmT6_P12ihipStream_tbEUlT_E0_NS1_11comp_targetILNS1_3genE8ELNS1_11target_archE1030ELNS1_3gpuE2ELNS1_3repE0EEENS1_30default_config_static_selectorELNS0_4arch9wavefront6targetE0EEEvSP_
; %bb.0:
	s_clause 0x1
	s_load_dwordx4 s[0:3], s[4:5], 0x40
	s_load_dwordx8 s[8:15], s[4:5], 0x8
	s_mov_b32 s5, 0
	v_mov_b32_e32 v1, 0
	s_mov_b32 s7, s5
	s_waitcnt lgkmcnt(0)
	s_add_i32 s16, s2, s0
	s_add_i32 s0, s16, 0x1fff
	s_lshr_b32 s0, s0, 13
	s_min_u32 s1, s6, s0
	s_lshl_b32 s1, s1, 2
	s_load_dword s4, s[8:9], s1 offset:0x0
	s_add_i32 s1, s6, 1
	s_min_u32 s0, s1, s0
	s_lshl_b32 s0, s0, 2
	s_load_dword s9, s[8:9], s0 offset:0x0
	s_lshl_b32 s8, s6, 13
	s_add_i32 s0, s8, 0x2000
	s_min_u32 s17, s16, s0
	s_waitcnt lgkmcnt(0)
	s_lshl_b64 s[0:1], s[4:5], 2
	s_sub_i32 s6, s8, s4
	s_add_u32 s0, s10, s0
	s_addc_u32 s1, s11, s1
	s_lshl_b64 s[2:3], s[6:7], 2
	s_mov_b32 s7, exec_lo
	s_add_u32 s2, s12, s2
	s_addc_u32 s3, s13, s3
	s_add_i32 s5, s6, s9
	s_sub_i32 s9, s9, s4
	s_sub_i32 s6, s17, s5
	s_add_u32 s4, s6, s9
	s_addc_u32 s5, 0, 0
	v_cmpx_le_u32_e64 s9, v0
	s_xor_b32 s7, exec_lo, s7
	s_cbranch_execz .LBB18_4
; %bb.1:
	s_mov_b32 s10, exec_lo
	v_cmpx_gt_u64_e64 s[4:5], v[0:1]
	s_cbranch_execz .LBB18_3
; %bb.2:
	v_subrev_nc_u32_e32 v1, s9, v0
	v_lshlrev_b32_e32 v2, 2, v0
	v_lshlrev_b32_e32 v1, 2, v1
	global_load_dword v1, v1, s[2:3]
	s_waitcnt vmcnt(0)
	ds_write_b32 v2, v1
.LBB18_3:
	s_or_b32 exec_lo, exec_lo, s10
.LBB18_4:
	s_or_saveexec_b32 s7, s7
	v_lshlrev_b32_e32 v10, 2, v0
	s_xor_b32 exec_lo, exec_lo, s7
	s_cbranch_execz .LBB18_6
; %bb.5:
	global_load_dword v1, v10, s[0:1]
	s_waitcnt vmcnt(0)
	ds_write_b32 v10, v1
.LBB18_6:
	s_or_b32 exec_lo, exec_lo, s7
	v_or_b32_e32 v1, 0x400, v0
	v_mov_b32_e32 v2, 0
	s_mov_b32 s7, exec_lo
	v_cmpx_le_u32_e64 s9, v1
	s_xor_b32 s7, exec_lo, s7
	s_cbranch_execz .LBB18_10
; %bb.7:
	s_mov_b32 s10, exec_lo
	v_cmpx_gt_u64_e64 s[4:5], v[1:2]
	s_cbranch_execz .LBB18_9
; %bb.8:
	v_subrev_nc_u32_e32 v2, s9, v1
	v_lshlrev_b32_e32 v2, 2, v2
	global_load_dword v2, v2, s[2:3]
	s_waitcnt vmcnt(0)
	ds_write_b32 v10, v2 offset:4096
.LBB18_9:
	s_or_b32 exec_lo, exec_lo, s10
.LBB18_10:
	s_andn2_saveexec_b32 s7, s7
	s_cbranch_execz .LBB18_12
; %bb.11:
	v_lshlrev_b32_e32 v2, 2, v1
	global_load_dword v2, v2, s[0:1]
	s_waitcnt vmcnt(0)
	ds_write_b32 v10, v2 offset:4096
.LBB18_12:
	s_or_b32 exec_lo, exec_lo, s7
	v_or_b32_e32 v2, 0x800, v0
	v_mov_b32_e32 v3, 0
	s_mov_b32 s7, exec_lo
	v_cmpx_le_u32_e64 s9, v2
	s_xor_b32 s7, exec_lo, s7
	s_cbranch_execz .LBB18_16
; %bb.13:
	s_mov_b32 s10, exec_lo
	v_cmpx_gt_u64_e64 s[4:5], v[2:3]
	s_cbranch_execz .LBB18_15
; %bb.14:
	v_subrev_nc_u32_e32 v3, s9, v2
	v_lshlrev_b32_e32 v3, 2, v3
	global_load_dword v3, v3, s[2:3]
	s_waitcnt vmcnt(0)
	ds_write_b32 v10, v3 offset:8192
.LBB18_15:
	s_or_b32 exec_lo, exec_lo, s10
.LBB18_16:
	s_andn2_saveexec_b32 s7, s7
	s_cbranch_execz .LBB18_18
; %bb.17:
	v_lshlrev_b32_e32 v3, 2, v2
	global_load_dword v3, v3, s[0:1]
	s_waitcnt vmcnt(0)
	ds_write_b32 v10, v3 offset:8192
.LBB18_18:
	;; [unrolled: 28-line block ×6, first 2 shown]
	s_or_b32 exec_lo, exec_lo, s7
	v_or_b32_e32 v7, 0x1c00, v0
	v_mov_b32_e32 v8, 0
	s_mov_b32 s7, exec_lo
	v_cmpx_le_u32_e64 s9, v7
	s_xor_b32 s7, exec_lo, s7
	s_cbranch_execz .LBB18_46
; %bb.43:
	v_cmp_gt_u64_e32 vcc_lo, s[4:5], v[7:8]
	s_and_saveexec_b32 s4, vcc_lo
	s_cbranch_execz .LBB18_45
; %bb.44:
	v_subrev_nc_u32_e32 v8, s9, v7
	v_lshlrev_b32_e32 v8, 2, v8
	global_load_dword v8, v8, s[2:3]
	s_waitcnt vmcnt(0)
	ds_write_b32 v10, v8 offset:28672
.LBB18_45:
	s_or_b32 exec_lo, exec_lo, s4
.LBB18_46:
	s_andn2_saveexec_b32 s2, s7
	s_cbranch_execz .LBB18_48
; %bb.47:
	v_lshlrev_b32_e32 v8, 2, v7
	global_load_dword v8, v8, s[0:1]
	s_waitcnt vmcnt(0)
	ds_write_b32 v10, v8 offset:28672
.LBB18_48:
	s_or_b32 exec_lo, exec_lo, s2
	v_lshlrev_b32_e32 v8, 3, v0
	s_mov_b32 s0, exec_lo
	s_waitcnt lgkmcnt(0)
	s_barrier
	buffer_gl0_inv
	v_sub_nc_u32_e64 v11, v8, s6 clamp
	v_min_u32_e32 v9, s9, v8
	v_cmpx_lt_u32_e64 v11, v9
	s_cbranch_execz .LBB18_52
; %bb.49:
	v_lshlrev_b32_e32 v12, 2, v8
	s_mov_b32 s1, 0
	v_lshl_add_u32 v12, s9, 2, v12
	.p2align	6
.LBB18_50:                              ; =>This Inner Loop Header: Depth=1
	v_add_nc_u32_e32 v13, v9, v11
	v_lshrrev_b32_e32 v13, 1, v13
	v_not_b32_e32 v14, v13
	v_lshlrev_b32_e32 v15, 2, v13
	v_add_nc_u32_e32 v16, 1, v13
	v_lshl_add_u32 v14, v14, 2, v12
	ds_read_b32 v15, v15
	ds_read_b32 v14, v14
	s_waitcnt lgkmcnt(0)
	v_cmp_lt_i32_e32 vcc_lo, v14, v15
	v_cndmask_b32_e32 v9, v9, v13, vcc_lo
	v_cndmask_b32_e32 v11, v16, v11, vcc_lo
	v_cmp_ge_u32_e32 vcc_lo, v11, v9
	s_or_b32 s1, vcc_lo, s1
	s_andn2_b32 exec_lo, exec_lo, s1
	s_cbranch_execnz .LBB18_50
; %bb.51:
	s_or_b32 exec_lo, exec_lo, s1
.LBB18_52:
	s_or_b32 exec_lo, exec_lo, s0
	v_add_nc_u32_e32 v8, s9, v8
	s_add_i32 s10, s6, s9
	v_cmp_ge_u32_e32 vcc_lo, s9, v11
	v_mov_b32_e32 v18, 0
	v_mov_b32_e32 v19, 0
	v_sub_nc_u32_e32 v12, v8, v11
	v_mov_b32_e32 v20, 0
	v_mov_b32_e32 v21, 0
	;; [unrolled: 1-line block ×4, first 2 shown]
	v_cmp_ge_u32_e64 s0, s10, v12
	v_mov_b32_e32 v9, 0
	v_mov_b32_e32 v8, 0
	s_or_b32 s0, vcc_lo, s0
	s_and_saveexec_b32 s11, s0
	s_cbranch_execz .LBB18_58
; %bb.53:
	v_cmp_gt_u32_e32 vcc_lo, s9, v11
                                        ; implicit-def: $vgpr8
	s_and_saveexec_b32 s0, vcc_lo
; %bb.54:
	v_lshlrev_b32_e32 v8, 2, v11
	ds_read_b32 v8, v8
; %bb.55:
	s_or_b32 exec_lo, exec_lo, s0
	v_cmp_le_u32_e64 s0, s10, v12
	s_mov_b32 s2, exec_lo
                                        ; implicit-def: $vgpr9
	v_cmpx_gt_u32_e64 s10, v12
; %bb.56:
	v_lshlrev_b32_e32 v9, 2, v12
	ds_read_b32 v9, v9
; %bb.57:
	s_or_b32 exec_lo, exec_lo, s2
	s_waitcnt lgkmcnt(0)
	v_cmp_ge_i32_e64 s1, v9, v8
	v_mov_b32_e32 v13, s9
	s_and_b32 s1, vcc_lo, s1
	s_or_b32 vcc_lo, s0, s1
	v_cndmask_b32_e32 v14, v12, v11, vcc_lo
	v_cndmask_b32_e32 v15, s10, v13, vcc_lo
	v_add_nc_u32_e32 v14, 1, v14
	v_add_nc_u32_e32 v15, -1, v15
	v_cndmask_b32_e32 v11, v11, v14, vcc_lo
	v_min_u32_e32 v15, v14, v15
	v_cndmask_b32_e32 v12, v14, v12, vcc_lo
	v_cmp_gt_u32_e64 s0, s9, v11
	v_lshlrev_b32_e32 v15, 2, v15
	v_cmp_le_u32_e64 s2, s10, v12
	ds_read_b32 v15, v15
	s_waitcnt lgkmcnt(0)
	v_cndmask_b32_e32 v16, v15, v9, vcc_lo
	v_cndmask_b32_e32 v15, v8, v15, vcc_lo
	;; [unrolled: 1-line block ×3, first 2 shown]
	v_cmp_ge_i32_e64 s1, v16, v15
	s_and_b32 s0, s0, s1
	s_or_b32 s0, s2, s0
	v_cndmask_b32_e64 v14, v12, v11, s0
	v_cndmask_b32_e64 v17, s10, v13, s0
	;; [unrolled: 1-line block ×3, first 2 shown]
	v_add_nc_u32_e32 v14, 1, v14
	v_add_nc_u32_e32 v17, -1, v17
	v_cndmask_b32_e64 v11, v11, v14, s0
	v_min_u32_e32 v17, v14, v17
	v_cndmask_b32_e64 v12, v14, v12, s0
	v_cmp_gt_u32_e64 s1, s9, v11
	v_lshlrev_b32_e32 v17, 2, v17
	v_cmp_le_u32_e64 s3, s10, v12
	ds_read_b32 v17, v17
	s_waitcnt lgkmcnt(0)
	v_cndmask_b32_e64 v18, v17, v16, s0
	v_cndmask_b32_e64 v17, v15, v17, s0
	v_cmp_ge_i32_e64 s2, v18, v17
	s_and_b32 s1, s1, s2
	s_or_b32 s1, s3, s1
	v_cndmask_b32_e64 v14, v12, v11, s1
	v_cndmask_b32_e64 v19, s10, v13, s1
	v_add_nc_u32_e32 v14, 1, v14
	v_add_nc_u32_e32 v19, -1, v19
	v_cndmask_b32_e64 v11, v11, v14, s1
	v_min_u32_e32 v19, v14, v19
	v_cndmask_b32_e64 v12, v14, v12, s1
	v_cmp_gt_u32_e64 s2, s9, v11
	v_lshlrev_b32_e32 v19, 2, v19
	v_cmp_le_u32_e64 s4, s10, v12
	ds_read_b32 v19, v19
	s_waitcnt lgkmcnt(0)
	v_cndmask_b32_e64 v20, v19, v18, s1
	v_cndmask_b32_e64 v19, v17, v19, s1
	v_cndmask_b32_e64 v17, v18, v17, s1
	v_cmp_ge_i32_e64 s3, v20, v19
	s_and_b32 s2, s2, s3
	s_or_b32 s2, s4, s2
	v_cndmask_b32_e64 v14, v12, v11, s2
	v_cndmask_b32_e64 v21, s10, v13, s2
	v_add_nc_u32_e32 v14, 1, v14
	v_add_nc_u32_e32 v21, -1, v21
	v_cndmask_b32_e64 v11, v11, v14, s2
	v_min_u32_e32 v21, v14, v21
	v_cndmask_b32_e64 v12, v14, v12, s2
	v_cmp_gt_u32_e64 s3, s9, v11
	v_lshlrev_b32_e32 v21, 2, v21
	v_cmp_le_u32_e64 s5, s10, v12
	ds_read_b32 v21, v21
	s_waitcnt lgkmcnt(0)
	v_cndmask_b32_e64 v23, v21, v20, s2
	v_cndmask_b32_e64 v21, v19, v21, s2
	v_cmp_ge_i32_e64 s4, v23, v21
	s_and_b32 s3, s3, s4
	s_or_b32 s3, s5, s3
	v_cndmask_b32_e64 v14, v12, v11, s3
	v_cndmask_b32_e64 v22, s10, v13, s3
	v_add_nc_u32_e32 v14, 1, v14
	v_add_nc_u32_e32 v22, -1, v22
	v_cndmask_b32_e64 v11, v11, v14, s3
	v_min_u32_e32 v22, v14, v22
	v_cndmask_b32_e64 v12, v14, v12, s3
	v_cmp_gt_u32_e64 s4, s9, v11
	v_lshlrev_b32_e32 v22, 2, v22
	v_cmp_le_u32_e64 s6, s10, v12
	ds_read_b32 v22, v22
	s_waitcnt lgkmcnt(0)
	v_cndmask_b32_e64 v24, v22, v23, s3
	v_cndmask_b32_e64 v25, v21, v22, s3
	;; [unrolled: 1-line block ×3, first 2 shown]
	v_cmp_ge_i32_e64 s5, v24, v25
	s_and_b32 s4, s4, s5
	s_or_b32 s4, s6, s4
	v_cndmask_b32_e64 v14, v12, v11, s4
	v_cndmask_b32_e64 v22, s10, v13, s4
	v_add_nc_u32_e32 v14, 1, v14
	v_add_nc_u32_e32 v22, -1, v22
	v_cndmask_b32_e64 v11, v11, v14, s4
	v_min_u32_e32 v22, v14, v22
	v_cndmask_b32_e64 v12, v14, v12, s4
	v_cmp_gt_u32_e64 s5, s9, v11
	v_lshlrev_b32_e32 v22, 2, v22
	v_cmp_le_u32_e64 s7, s10, v12
	ds_read_b32 v22, v22
	s_waitcnt lgkmcnt(0)
	v_cndmask_b32_e64 v26, v22, v24, s4
	v_cndmask_b32_e64 v27, v25, v22, s4
	;; [unrolled: 1-line block ×4, first 2 shown]
	v_cmp_ge_i32_e64 s6, v26, v27
	s_and_b32 s5, s5, s6
	s_or_b32 s5, s7, s5
	v_cndmask_b32_e64 v14, v12, v11, s5
	v_cndmask_b32_e64 v13, s10, v13, s5
	;; [unrolled: 1-line block ×3, first 2 shown]
	v_add_nc_u32_e32 v14, 1, v14
	v_add_nc_u32_e32 v13, -1, v13
	v_cndmask_b32_e64 v11, v11, v14, s5
	v_min_u32_e32 v13, v14, v13
	v_cndmask_b32_e64 v12, v14, v12, s5
	v_cmp_gt_u32_e32 vcc_lo, s9, v11
	v_lshlrev_b32_e32 v13, 2, v13
	v_cmp_le_u32_e64 s1, s10, v12
	ds_read_b32 v13, v13
	s_waitcnt lgkmcnt(0)
	v_cndmask_b32_e64 v28, v13, v26, s5
	v_cndmask_b32_e64 v13, v27, v13, s5
	v_cmp_ge_i32_e64 s0, v28, v13
	s_and_b32 s0, vcc_lo, s0
	s_or_b32 vcc_lo, s1, s0
	v_cndmask_b32_e32 v18, v28, v13, vcc_lo
.LBB18_58:
	s_or_b32 exec_lo, exec_lo, s11
	v_and_b32_e32 v11, 0x3fc, v0
	s_mov_b32 s9, 0
	s_sub_i32 s2, s16, s8
	s_lshl_b64 s[0:1], s[8:9], 2
	v_lshl_add_u32 v11, v0, 5, v11
	s_barrier
	buffer_gl0_inv
	v_lshrrev_b32_e32 v16, 3, v1
	v_lshrrev_b32_e32 v15, 3, v2
	ds_write2_b32 v11, v8, v9 offset1:1
	v_lshrrev_b32_e32 v14, 3, v3
	v_lshrrev_b32_e32 v13, 3, v4
	;; [unrolled: 1-line block ×5, first 2 shown]
	s_add_u32 s0, s14, s0
	s_addc_u32 s1, s15, s1
	s_cmpk_gt_u32 s2, 0x1fff
	ds_write2_b32 v11, v17, v22 offset0:2 offset1:3
	ds_write2_b32 v11, v21, v20 offset0:4 offset1:5
	;; [unrolled: 1-line block ×3, first 2 shown]
	s_waitcnt lgkmcnt(0)
	s_cbranch_scc0 .LBB18_60
; %bb.59:
	v_lshrrev_b32_e32 v11, 3, v0
	v_and_b32_e32 v17, 0xfc, v16
	v_and_b32_e32 v18, 0x1fc, v15
	s_barrier
	buffer_gl0_inv
	v_and_b32_e32 v11, 0x7c, v11
	v_add_nc_u32_e32 v17, v17, v10
	v_add_nc_u32_e32 v18, v18, v10
	v_and_b32_e32 v19, 0x1fc, v14
	v_and_b32_e32 v20, 0x3fc, v13
	v_add_nc_u32_e32 v11, v11, v10
	v_and_b32_e32 v21, 0x3fc, v12
	v_and_b32_e32 v22, 0x3fc, v9
	v_add_co_u32 v27, s3, s0, v10
	ds_read_b32 v23, v11
	ds_read_b32 v24, v17 offset:4096
	ds_read_b32 v25, v18 offset:8192
	v_and_b32_e32 v17, 0x3fc, v8
	v_add_nc_u32_e32 v11, v19, v10
	v_add_co_ci_u32_e64 v28, null, s1, 0, s3
	v_add_nc_u32_e32 v26, v20, v10
	v_add_nc_u32_e32 v21, v21, v10
	v_add_nc_u32_e32 v22, v22, v10
	v_add_nc_u32_e32 v29, v17, v10
	v_add_co_u32 v17, vcc_lo, 0x1000, v27
	v_add_co_ci_u32_e64 v18, null, 0, v28, vcc_lo
	v_add_co_u32 v19, vcc_lo, 0x2000, v27
	ds_read_b32 v30, v11 offset:12288
	ds_read_b32 v26, v26 offset:16384
	;; [unrolled: 1-line block ×5, first 2 shown]
	v_add_co_ci_u32_e64 v20, null, 0, v28, vcc_lo
	s_waitcnt lgkmcnt(7)
	global_store_dword v10, v23, s[0:1]
	s_waitcnt lgkmcnt(6)
	global_store_dword v[17:18], v24, off
	s_waitcnt lgkmcnt(5)
	global_store_dword v[19:20], v25, off
	v_add_co_u32 v17, vcc_lo, 0x3000, v27
	v_add_co_ci_u32_e64 v18, null, 0, v28, vcc_lo
	v_add_co_u32 v19, vcc_lo, 0x4000, v27
	v_add_co_ci_u32_e64 v20, null, 0, v28, vcc_lo
	;; [unrolled: 2-line block ×4, first 2 shown]
	s_waitcnt lgkmcnt(4)
	global_store_dword v[17:18], v30, off
	s_waitcnt lgkmcnt(3)
	global_store_dword v[19:20], v26, off
	;; [unrolled: 2-line block ×3, first 2 shown]
	s_mov_b32 s9, -1
	s_waitcnt lgkmcnt(1)
	global_store_dword v[23:24], v32, off
	s_cbranch_execz .LBB18_61
	s_branch .LBB18_70
.LBB18_60:
                                        ; implicit-def: $vgpr11
.LBB18_61:
	s_waitcnt lgkmcnt(0)
	v_and_b32_e32 v11, 0xfc, v16
	v_and_b32_e32 v15, 0x1fc, v15
	;; [unrolled: 1-line block ×5, first 2 shown]
	v_add_nc_u32_e32 v11, v11, v10
	v_and_b32_e32 v9, 0x3fc, v9
	v_and_b32_e32 v8, 0x3fc, v8
	v_add_nc_u32_e32 v15, v15, v10
	v_add_nc_u32_e32 v14, v14, v10
	;; [unrolled: 1-line block ×4, first 2 shown]
	s_barrier
	s_waitcnt_vscnt null, 0x0
	buffer_gl0_inv
	v_add_nc_u32_e32 v9, v9, v10
	v_add_nc_u32_e32 v8, v8, v10
	ds_read_b32 v17, v11 offset:4096
	ds_read_b32 v16, v15 offset:8192
	;; [unrolled: 1-line block ×7, first 2 shown]
	v_add_co_u32 v8, s3, s0, v10
	v_add_co_ci_u32_e64 v9, null, s1, 0, s3
	s_mov_b32 s3, exec_lo
	v_cmpx_gt_u32_e64 s2, v0
	s_cbranch_execnz .LBB18_73
; %bb.62:
	s_or_b32 exec_lo, exec_lo, s3
	s_mov_b32 s3, exec_lo
	v_cmpx_gt_u32_e64 s2, v1
	s_cbranch_execnz .LBB18_74
.LBB18_63:
	s_or_b32 exec_lo, exec_lo, s3
	s_mov_b32 s3, exec_lo
	v_cmpx_gt_u32_e64 s2, v2
	s_cbranch_execnz .LBB18_75
.LBB18_64:
	s_or_b32 exec_lo, exec_lo, s3
	s_mov_b32 s3, exec_lo
	v_cmpx_gt_u32_e64 s2, v3
	s_cbranch_execnz .LBB18_76
.LBB18_65:
	s_or_b32 exec_lo, exec_lo, s3
	s_mov_b32 s3, exec_lo
	v_cmpx_gt_u32_e64 s2, v4
	s_cbranch_execnz .LBB18_77
.LBB18_66:
	s_or_b32 exec_lo, exec_lo, s3
	s_mov_b32 s3, exec_lo
	v_cmpx_gt_u32_e64 s2, v5
	s_cbranch_execnz .LBB18_78
.LBB18_67:
	s_or_b32 exec_lo, exec_lo, s3
	s_mov_b32 s3, exec_lo
	v_cmpx_gt_u32_e64 s2, v6
	s_cbranch_execz .LBB18_69
.LBB18_68:
	v_add_co_u32 v0, vcc_lo, 0x6000, v8
	v_add_co_ci_u32_e64 v1, null, 0, v9, vcc_lo
	s_waitcnt lgkmcnt(1)
	global_store_dword v[0:1], v12, off
.LBB18_69:
	s_or_b32 exec_lo, exec_lo, s3
	v_cmp_gt_u32_e64 s9, s2, v7
.LBB18_70:
	s_and_saveexec_b32 s2, s9
	s_cbranch_execnz .LBB18_72
; %bb.71:
	s_endpgm
.LBB18_72:
	v_add_co_u32 v0, s0, s0, v10
	v_add_co_ci_u32_e64 v1, null, s1, 0, s0
	v_add_co_u32 v0, vcc_lo, 0x7000, v0
	v_add_co_ci_u32_e64 v1, null, 0, v1, vcc_lo
	s_waitcnt lgkmcnt(0)
	global_store_dword v[0:1], v11, off
	s_endpgm
.LBB18_73:
	v_lshrrev_b32_e32 v18, 3, v0
	v_and_b32_e32 v18, 0x7c, v18
	v_lshl_add_u32 v0, v0, 2, v18
	ds_read_b32 v0, v0
	s_waitcnt lgkmcnt(0)
	global_store_dword v[8:9], v0, off
	s_or_b32 exec_lo, exec_lo, s3
	s_mov_b32 s3, exec_lo
	v_cmpx_gt_u32_e64 s2, v1
	s_cbranch_execz .LBB18_63
.LBB18_74:
	v_add_co_u32 v0, vcc_lo, 0x1000, v8
	v_add_co_ci_u32_e64 v1, null, 0, v9, vcc_lo
	s_waitcnt lgkmcnt(6)
	global_store_dword v[0:1], v17, off
	s_or_b32 exec_lo, exec_lo, s3
	s_mov_b32 s3, exec_lo
	v_cmpx_gt_u32_e64 s2, v2
	s_cbranch_execz .LBB18_64
.LBB18_75:
	v_add_co_u32 v0, vcc_lo, 0x2000, v8
	v_add_co_ci_u32_e64 v1, null, 0, v9, vcc_lo
	s_waitcnt lgkmcnt(5)
	global_store_dword v[0:1], v16, off
	s_or_b32 exec_lo, exec_lo, s3
	s_mov_b32 s3, exec_lo
	v_cmpx_gt_u32_e64 s2, v3
	s_cbranch_execz .LBB18_65
.LBB18_76:
	v_add_co_u32 v0, vcc_lo, 0x3000, v8
	v_add_co_ci_u32_e64 v1, null, 0, v9, vcc_lo
	s_waitcnt lgkmcnt(4)
	global_store_dword v[0:1], v15, off
	s_or_b32 exec_lo, exec_lo, s3
	s_mov_b32 s3, exec_lo
	v_cmpx_gt_u32_e64 s2, v4
	s_cbranch_execz .LBB18_66
.LBB18_77:
	v_add_co_u32 v0, vcc_lo, 0x4000, v8
	v_add_co_ci_u32_e64 v1, null, 0, v9, vcc_lo
	s_waitcnt lgkmcnt(3)
	global_store_dword v[0:1], v14, off
	s_or_b32 exec_lo, exec_lo, s3
	s_mov_b32 s3, exec_lo
	v_cmpx_gt_u32_e64 s2, v5
	s_cbranch_execz .LBB18_67
.LBB18_78:
	v_add_co_u32 v0, vcc_lo, 0x5000, v8
	v_add_co_ci_u32_e64 v1, null, 0, v9, vcc_lo
	s_waitcnt lgkmcnt(2)
	global_store_dword v[0:1], v13, off
	s_or_b32 exec_lo, exec_lo, s3
	s_mov_b32 s3, exec_lo
	v_cmpx_gt_u32_e64 s2, v6
	s_cbranch_execnz .LBB18_68
	s_branch .LBB18_69
	.section	.rodata,"a",@progbits
	.p2align	6, 0x0
	.amdhsa_kernel _ZN7rocprim17ROCPRIM_400000_NS6detail17trampoline_kernelINS0_14default_configENS1_21merge_config_selectorIiNS0_10empty_typeEEEZNS1_10merge_implIS3_N6thrust23THRUST_200600_302600_NS6detail15normal_iteratorINS9_10device_ptrIKiEEEESF_NSB_INSC_IiEEEEPS5_SI_SI_NS9_4lessIiEEEE10hipError_tPvRmT0_T1_T2_T3_T4_T5_mmT6_P12ihipStream_tbEUlT_E0_NS1_11comp_targetILNS1_3genE8ELNS1_11target_archE1030ELNS1_3gpuE2ELNS1_3repE0EEENS1_30default_config_static_selectorELNS0_4arch9wavefront6targetE0EEEvSP_
		.amdhsa_group_segment_fixed_size 33792
		.amdhsa_private_segment_fixed_size 0
		.amdhsa_kernarg_size 88
		.amdhsa_user_sgpr_count 6
		.amdhsa_user_sgpr_private_segment_buffer 1
		.amdhsa_user_sgpr_dispatch_ptr 0
		.amdhsa_user_sgpr_queue_ptr 0
		.amdhsa_user_sgpr_kernarg_segment_ptr 1
		.amdhsa_user_sgpr_dispatch_id 0
		.amdhsa_user_sgpr_flat_scratch_init 0
		.amdhsa_user_sgpr_private_segment_size 0
		.amdhsa_wavefront_size32 1
		.amdhsa_uses_dynamic_stack 0
		.amdhsa_system_sgpr_private_segment_wavefront_offset 0
		.amdhsa_system_sgpr_workgroup_id_x 1
		.amdhsa_system_sgpr_workgroup_id_y 0
		.amdhsa_system_sgpr_workgroup_id_z 0
		.amdhsa_system_sgpr_workgroup_info 0
		.amdhsa_system_vgpr_workitem_id 0
		.amdhsa_next_free_vgpr 33
		.amdhsa_next_free_sgpr 18
		.amdhsa_reserve_vcc 1
		.amdhsa_reserve_flat_scratch 0
		.amdhsa_float_round_mode_32 0
		.amdhsa_float_round_mode_16_64 0
		.amdhsa_float_denorm_mode_32 3
		.amdhsa_float_denorm_mode_16_64 3
		.amdhsa_dx10_clamp 1
		.amdhsa_ieee_mode 1
		.amdhsa_fp16_overflow 0
		.amdhsa_workgroup_processor_mode 1
		.amdhsa_memory_ordered 1
		.amdhsa_forward_progress 1
		.amdhsa_shared_vgpr_count 0
		.amdhsa_exception_fp_ieee_invalid_op 0
		.amdhsa_exception_fp_denorm_src 0
		.amdhsa_exception_fp_ieee_div_zero 0
		.amdhsa_exception_fp_ieee_overflow 0
		.amdhsa_exception_fp_ieee_underflow 0
		.amdhsa_exception_fp_ieee_inexact 0
		.amdhsa_exception_int_div_zero 0
	.end_amdhsa_kernel
	.section	.text._ZN7rocprim17ROCPRIM_400000_NS6detail17trampoline_kernelINS0_14default_configENS1_21merge_config_selectorIiNS0_10empty_typeEEEZNS1_10merge_implIS3_N6thrust23THRUST_200600_302600_NS6detail15normal_iteratorINS9_10device_ptrIKiEEEESF_NSB_INSC_IiEEEEPS5_SI_SI_NS9_4lessIiEEEE10hipError_tPvRmT0_T1_T2_T3_T4_T5_mmT6_P12ihipStream_tbEUlT_E0_NS1_11comp_targetILNS1_3genE8ELNS1_11target_archE1030ELNS1_3gpuE2ELNS1_3repE0EEENS1_30default_config_static_selectorELNS0_4arch9wavefront6targetE0EEEvSP_,"axG",@progbits,_ZN7rocprim17ROCPRIM_400000_NS6detail17trampoline_kernelINS0_14default_configENS1_21merge_config_selectorIiNS0_10empty_typeEEEZNS1_10merge_implIS3_N6thrust23THRUST_200600_302600_NS6detail15normal_iteratorINS9_10device_ptrIKiEEEESF_NSB_INSC_IiEEEEPS5_SI_SI_NS9_4lessIiEEEE10hipError_tPvRmT0_T1_T2_T3_T4_T5_mmT6_P12ihipStream_tbEUlT_E0_NS1_11comp_targetILNS1_3genE8ELNS1_11target_archE1030ELNS1_3gpuE2ELNS1_3repE0EEENS1_30default_config_static_selectorELNS0_4arch9wavefront6targetE0EEEvSP_,comdat
.Lfunc_end18:
	.size	_ZN7rocprim17ROCPRIM_400000_NS6detail17trampoline_kernelINS0_14default_configENS1_21merge_config_selectorIiNS0_10empty_typeEEEZNS1_10merge_implIS3_N6thrust23THRUST_200600_302600_NS6detail15normal_iteratorINS9_10device_ptrIKiEEEESF_NSB_INSC_IiEEEEPS5_SI_SI_NS9_4lessIiEEEE10hipError_tPvRmT0_T1_T2_T3_T4_T5_mmT6_P12ihipStream_tbEUlT_E0_NS1_11comp_targetILNS1_3genE8ELNS1_11target_archE1030ELNS1_3gpuE2ELNS1_3repE0EEENS1_30default_config_static_selectorELNS0_4arch9wavefront6targetE0EEEvSP_, .Lfunc_end18-_ZN7rocprim17ROCPRIM_400000_NS6detail17trampoline_kernelINS0_14default_configENS1_21merge_config_selectorIiNS0_10empty_typeEEEZNS1_10merge_implIS3_N6thrust23THRUST_200600_302600_NS6detail15normal_iteratorINS9_10device_ptrIKiEEEESF_NSB_INSC_IiEEEEPS5_SI_SI_NS9_4lessIiEEEE10hipError_tPvRmT0_T1_T2_T3_T4_T5_mmT6_P12ihipStream_tbEUlT_E0_NS1_11comp_targetILNS1_3genE8ELNS1_11target_archE1030ELNS1_3gpuE2ELNS1_3repE0EEENS1_30default_config_static_selectorELNS0_4arch9wavefront6targetE0EEEvSP_
                                        ; -- End function
	.set _ZN7rocprim17ROCPRIM_400000_NS6detail17trampoline_kernelINS0_14default_configENS1_21merge_config_selectorIiNS0_10empty_typeEEEZNS1_10merge_implIS3_N6thrust23THRUST_200600_302600_NS6detail15normal_iteratorINS9_10device_ptrIKiEEEESF_NSB_INSC_IiEEEEPS5_SI_SI_NS9_4lessIiEEEE10hipError_tPvRmT0_T1_T2_T3_T4_T5_mmT6_P12ihipStream_tbEUlT_E0_NS1_11comp_targetILNS1_3genE8ELNS1_11target_archE1030ELNS1_3gpuE2ELNS1_3repE0EEENS1_30default_config_static_selectorELNS0_4arch9wavefront6targetE0EEEvSP_.num_vgpr, 33
	.set _ZN7rocprim17ROCPRIM_400000_NS6detail17trampoline_kernelINS0_14default_configENS1_21merge_config_selectorIiNS0_10empty_typeEEEZNS1_10merge_implIS3_N6thrust23THRUST_200600_302600_NS6detail15normal_iteratorINS9_10device_ptrIKiEEEESF_NSB_INSC_IiEEEEPS5_SI_SI_NS9_4lessIiEEEE10hipError_tPvRmT0_T1_T2_T3_T4_T5_mmT6_P12ihipStream_tbEUlT_E0_NS1_11comp_targetILNS1_3genE8ELNS1_11target_archE1030ELNS1_3gpuE2ELNS1_3repE0EEENS1_30default_config_static_selectorELNS0_4arch9wavefront6targetE0EEEvSP_.num_agpr, 0
	.set _ZN7rocprim17ROCPRIM_400000_NS6detail17trampoline_kernelINS0_14default_configENS1_21merge_config_selectorIiNS0_10empty_typeEEEZNS1_10merge_implIS3_N6thrust23THRUST_200600_302600_NS6detail15normal_iteratorINS9_10device_ptrIKiEEEESF_NSB_INSC_IiEEEEPS5_SI_SI_NS9_4lessIiEEEE10hipError_tPvRmT0_T1_T2_T3_T4_T5_mmT6_P12ihipStream_tbEUlT_E0_NS1_11comp_targetILNS1_3genE8ELNS1_11target_archE1030ELNS1_3gpuE2ELNS1_3repE0EEENS1_30default_config_static_selectorELNS0_4arch9wavefront6targetE0EEEvSP_.numbered_sgpr, 18
	.set _ZN7rocprim17ROCPRIM_400000_NS6detail17trampoline_kernelINS0_14default_configENS1_21merge_config_selectorIiNS0_10empty_typeEEEZNS1_10merge_implIS3_N6thrust23THRUST_200600_302600_NS6detail15normal_iteratorINS9_10device_ptrIKiEEEESF_NSB_INSC_IiEEEEPS5_SI_SI_NS9_4lessIiEEEE10hipError_tPvRmT0_T1_T2_T3_T4_T5_mmT6_P12ihipStream_tbEUlT_E0_NS1_11comp_targetILNS1_3genE8ELNS1_11target_archE1030ELNS1_3gpuE2ELNS1_3repE0EEENS1_30default_config_static_selectorELNS0_4arch9wavefront6targetE0EEEvSP_.num_named_barrier, 0
	.set _ZN7rocprim17ROCPRIM_400000_NS6detail17trampoline_kernelINS0_14default_configENS1_21merge_config_selectorIiNS0_10empty_typeEEEZNS1_10merge_implIS3_N6thrust23THRUST_200600_302600_NS6detail15normal_iteratorINS9_10device_ptrIKiEEEESF_NSB_INSC_IiEEEEPS5_SI_SI_NS9_4lessIiEEEE10hipError_tPvRmT0_T1_T2_T3_T4_T5_mmT6_P12ihipStream_tbEUlT_E0_NS1_11comp_targetILNS1_3genE8ELNS1_11target_archE1030ELNS1_3gpuE2ELNS1_3repE0EEENS1_30default_config_static_selectorELNS0_4arch9wavefront6targetE0EEEvSP_.private_seg_size, 0
	.set _ZN7rocprim17ROCPRIM_400000_NS6detail17trampoline_kernelINS0_14default_configENS1_21merge_config_selectorIiNS0_10empty_typeEEEZNS1_10merge_implIS3_N6thrust23THRUST_200600_302600_NS6detail15normal_iteratorINS9_10device_ptrIKiEEEESF_NSB_INSC_IiEEEEPS5_SI_SI_NS9_4lessIiEEEE10hipError_tPvRmT0_T1_T2_T3_T4_T5_mmT6_P12ihipStream_tbEUlT_E0_NS1_11comp_targetILNS1_3genE8ELNS1_11target_archE1030ELNS1_3gpuE2ELNS1_3repE0EEENS1_30default_config_static_selectorELNS0_4arch9wavefront6targetE0EEEvSP_.uses_vcc, 1
	.set _ZN7rocprim17ROCPRIM_400000_NS6detail17trampoline_kernelINS0_14default_configENS1_21merge_config_selectorIiNS0_10empty_typeEEEZNS1_10merge_implIS3_N6thrust23THRUST_200600_302600_NS6detail15normal_iteratorINS9_10device_ptrIKiEEEESF_NSB_INSC_IiEEEEPS5_SI_SI_NS9_4lessIiEEEE10hipError_tPvRmT0_T1_T2_T3_T4_T5_mmT6_P12ihipStream_tbEUlT_E0_NS1_11comp_targetILNS1_3genE8ELNS1_11target_archE1030ELNS1_3gpuE2ELNS1_3repE0EEENS1_30default_config_static_selectorELNS0_4arch9wavefront6targetE0EEEvSP_.uses_flat_scratch, 0
	.set _ZN7rocprim17ROCPRIM_400000_NS6detail17trampoline_kernelINS0_14default_configENS1_21merge_config_selectorIiNS0_10empty_typeEEEZNS1_10merge_implIS3_N6thrust23THRUST_200600_302600_NS6detail15normal_iteratorINS9_10device_ptrIKiEEEESF_NSB_INSC_IiEEEEPS5_SI_SI_NS9_4lessIiEEEE10hipError_tPvRmT0_T1_T2_T3_T4_T5_mmT6_P12ihipStream_tbEUlT_E0_NS1_11comp_targetILNS1_3genE8ELNS1_11target_archE1030ELNS1_3gpuE2ELNS1_3repE0EEENS1_30default_config_static_selectorELNS0_4arch9wavefront6targetE0EEEvSP_.has_dyn_sized_stack, 0
	.set _ZN7rocprim17ROCPRIM_400000_NS6detail17trampoline_kernelINS0_14default_configENS1_21merge_config_selectorIiNS0_10empty_typeEEEZNS1_10merge_implIS3_N6thrust23THRUST_200600_302600_NS6detail15normal_iteratorINS9_10device_ptrIKiEEEESF_NSB_INSC_IiEEEEPS5_SI_SI_NS9_4lessIiEEEE10hipError_tPvRmT0_T1_T2_T3_T4_T5_mmT6_P12ihipStream_tbEUlT_E0_NS1_11comp_targetILNS1_3genE8ELNS1_11target_archE1030ELNS1_3gpuE2ELNS1_3repE0EEENS1_30default_config_static_selectorELNS0_4arch9wavefront6targetE0EEEvSP_.has_recursion, 0
	.set _ZN7rocprim17ROCPRIM_400000_NS6detail17trampoline_kernelINS0_14default_configENS1_21merge_config_selectorIiNS0_10empty_typeEEEZNS1_10merge_implIS3_N6thrust23THRUST_200600_302600_NS6detail15normal_iteratorINS9_10device_ptrIKiEEEESF_NSB_INSC_IiEEEEPS5_SI_SI_NS9_4lessIiEEEE10hipError_tPvRmT0_T1_T2_T3_T4_T5_mmT6_P12ihipStream_tbEUlT_E0_NS1_11comp_targetILNS1_3genE8ELNS1_11target_archE1030ELNS1_3gpuE2ELNS1_3repE0EEENS1_30default_config_static_selectorELNS0_4arch9wavefront6targetE0EEEvSP_.has_indirect_call, 0
	.section	.AMDGPU.csdata,"",@progbits
; Kernel info:
; codeLenInByte = 3448
; TotalNumSgprs: 20
; NumVgprs: 33
; ScratchSize: 0
; MemoryBound: 0
; FloatMode: 240
; IeeeMode: 1
; LDSByteSize: 33792 bytes/workgroup (compile time only)
; SGPRBlocks: 0
; VGPRBlocks: 4
; NumSGPRsForWavesPerEU: 20
; NumVGPRsForWavesPerEU: 33
; Occupancy: 16
; WaveLimiterHint : 1
; COMPUTE_PGM_RSRC2:SCRATCH_EN: 0
; COMPUTE_PGM_RSRC2:USER_SGPR: 6
; COMPUTE_PGM_RSRC2:TRAP_HANDLER: 0
; COMPUTE_PGM_RSRC2:TGID_X_EN: 1
; COMPUTE_PGM_RSRC2:TGID_Y_EN: 0
; COMPUTE_PGM_RSRC2:TGID_Z_EN: 0
; COMPUTE_PGM_RSRC2:TIDIG_COMP_CNT: 0
	.section	.text._ZN7rocprim17ROCPRIM_400000_NS6detail31init_lookback_scan_state_kernelINS1_19lookback_scan_stateIlLb0ELb1EEENS1_16ordered_block_idIjEEEEvT_jT0_jPNS7_10value_typeE,"axG",@progbits,_ZN7rocprim17ROCPRIM_400000_NS6detail31init_lookback_scan_state_kernelINS1_19lookback_scan_stateIlLb0ELb1EEENS1_16ordered_block_idIjEEEEvT_jT0_jPNS7_10value_typeE,comdat
	.protected	_ZN7rocprim17ROCPRIM_400000_NS6detail31init_lookback_scan_state_kernelINS1_19lookback_scan_stateIlLb0ELb1EEENS1_16ordered_block_idIjEEEEvT_jT0_jPNS7_10value_typeE ; -- Begin function _ZN7rocprim17ROCPRIM_400000_NS6detail31init_lookback_scan_state_kernelINS1_19lookback_scan_stateIlLb0ELb1EEENS1_16ordered_block_idIjEEEEvT_jT0_jPNS7_10value_typeE
	.globl	_ZN7rocprim17ROCPRIM_400000_NS6detail31init_lookback_scan_state_kernelINS1_19lookback_scan_stateIlLb0ELb1EEENS1_16ordered_block_idIjEEEEvT_jT0_jPNS7_10value_typeE
	.p2align	8
	.type	_ZN7rocprim17ROCPRIM_400000_NS6detail31init_lookback_scan_state_kernelINS1_19lookback_scan_stateIlLb0ELb1EEENS1_16ordered_block_idIjEEEEvT_jT0_jPNS7_10value_typeE,@function
_ZN7rocprim17ROCPRIM_400000_NS6detail31init_lookback_scan_state_kernelINS1_19lookback_scan_stateIlLb0ELb1EEENS1_16ordered_block_idIjEEEEvT_jT0_jPNS7_10value_typeE: ; @_ZN7rocprim17ROCPRIM_400000_NS6detail31init_lookback_scan_state_kernelINS1_19lookback_scan_stateIlLb0ELb1EEENS1_16ordered_block_idIjEEEEvT_jT0_jPNS7_10value_typeE
; %bb.0:
	s_clause 0x3
	s_load_dword s7, s[4:5], 0x34
	s_load_dwordx2 s[2:3], s[4:5], 0x20
	s_load_dwordx2 s[0:1], s[4:5], 0x0
	s_load_dword s8, s[4:5], 0x8
	s_waitcnt lgkmcnt(0)
	s_and_b32 s7, s7, 0xffff
	s_cmp_eq_u64 s[2:3], 0
	v_mad_u64_u32 v[0:1], null, s6, s7, v[0:1]
	s_cbranch_scc1 .LBB19_8
; %bb.1:
	s_load_dword s6, s[4:5], 0x18
	s_waitcnt lgkmcnt(0)
	s_cmp_lt_u32 s6, s8
	s_cselect_b32 s7, s6, 0
	v_cmp_eq_u32_e32 vcc_lo, s7, v0
	s_mov_b32 s7, 0
	s_and_saveexec_b32 s9, vcc_lo
	s_cbranch_execz .LBB19_7
; %bb.2:
	s_add_i32 s6, s6, 32
	v_mov_b32_e32 v5, 0
	s_lshl_b64 s[6:7], s[6:7], 4
	s_mov_b32 s10, exec_lo
	s_add_u32 s6, s0, s6
	s_addc_u32 s7, s1, s7
	v_mov_b32_e32 v1, s6
	v_mov_b32_e32 v2, s7
	;;#ASMSTART
	global_load_dwordx4 v[1:4], v[1:2] off glc dlc	
s_waitcnt vmcnt(0)
	;;#ASMEND
	v_and_b32_e32 v4, 0xff, v3
	v_cmpx_eq_u64_e32 0, v[4:5]
	s_cbranch_execz .LBB19_6
; %bb.3:
	v_mov_b32_e32 v6, s6
	v_mov_b32_e32 v7, s7
	s_mov_b32 s6, 0
.LBB19_4:                               ; =>This Inner Loop Header: Depth=1
	;;#ASMSTART
	global_load_dwordx4 v[1:4], v[6:7] off glc dlc	
s_waitcnt vmcnt(0)
	;;#ASMEND
	v_and_b32_e32 v4, 0xff, v3
	v_cmp_ne_u64_e32 vcc_lo, 0, v[4:5]
	s_or_b32 s6, vcc_lo, s6
	s_andn2_b32 exec_lo, exec_lo, s6
	s_cbranch_execnz .LBB19_4
; %bb.5:
	s_or_b32 exec_lo, exec_lo, s6
.LBB19_6:
	s_or_b32 exec_lo, exec_lo, s10
	v_mov_b32_e32 v3, 0
	global_store_dwordx2 v3, v[1:2], s[2:3]
.LBB19_7:
	s_or_b32 exec_lo, exec_lo, s9
.LBB19_8:
	s_mov_b32 s2, exec_lo
	v_cmpx_eq_u32_e32 0, v0
	s_cbranch_execz .LBB19_10
; %bb.9:
	s_load_dwordx2 s[4:5], s[4:5], 0x10
	v_mov_b32_e32 v1, 0
	s_waitcnt lgkmcnt(0)
	global_store_dword v1, v1, s[4:5]
.LBB19_10:
	s_or_b32 exec_lo, exec_lo, s2
	s_mov_b32 s2, exec_lo
	v_cmpx_gt_u32_e64 s8, v0
	s_cbranch_execz .LBB19_12
; %bb.11:
	v_add_nc_u32_e32 v1, 32, v0
	v_mov_b32_e32 v2, 0
	v_lshlrev_b64 v[4:5], 4, v[1:2]
	v_mov_b32_e32 v1, v2
	v_mov_b32_e32 v3, v2
	v_add_co_u32 v6, vcc_lo, s0, v4
	v_add_co_ci_u32_e64 v7, null, s1, v5, vcc_lo
	v_mov_b32_e32 v4, v2
	global_store_dwordx4 v[6:7], v[1:4], off
.LBB19_12:
	s_or_b32 exec_lo, exec_lo, s2
	s_mov_b32 s2, exec_lo
	v_cmpx_gt_u32_e32 32, v0
	s_cbranch_execz .LBB19_14
; %bb.13:
	v_mov_b32_e32 v1, 0
	v_mov_b32_e32 v2, 0xff
	v_lshlrev_b64 v[3:4], 4, v[0:1]
	v_mov_b32_e32 v0, v1
	v_add_co_u32 v5, vcc_lo, s0, v3
	v_add_co_ci_u32_e64 v6, null, s1, v4, vcc_lo
	v_mov_b32_e32 v3, v1
	global_store_dwordx4 v[5:6], v[0:3], off
.LBB19_14:
	s_endpgm
	.section	.rodata,"a",@progbits
	.p2align	6, 0x0
	.amdhsa_kernel _ZN7rocprim17ROCPRIM_400000_NS6detail31init_lookback_scan_state_kernelINS1_19lookback_scan_stateIlLb0ELb1EEENS1_16ordered_block_idIjEEEEvT_jT0_jPNS7_10value_typeE
		.amdhsa_group_segment_fixed_size 0
		.amdhsa_private_segment_fixed_size 0
		.amdhsa_kernarg_size 296
		.amdhsa_user_sgpr_count 6
		.amdhsa_user_sgpr_private_segment_buffer 1
		.amdhsa_user_sgpr_dispatch_ptr 0
		.amdhsa_user_sgpr_queue_ptr 0
		.amdhsa_user_sgpr_kernarg_segment_ptr 1
		.amdhsa_user_sgpr_dispatch_id 0
		.amdhsa_user_sgpr_flat_scratch_init 0
		.amdhsa_user_sgpr_private_segment_size 0
		.amdhsa_wavefront_size32 1
		.amdhsa_uses_dynamic_stack 0
		.amdhsa_system_sgpr_private_segment_wavefront_offset 0
		.amdhsa_system_sgpr_workgroup_id_x 1
		.amdhsa_system_sgpr_workgroup_id_y 0
		.amdhsa_system_sgpr_workgroup_id_z 0
		.amdhsa_system_sgpr_workgroup_info 0
		.amdhsa_system_vgpr_workitem_id 0
		.amdhsa_next_free_vgpr 8
		.amdhsa_next_free_sgpr 11
		.amdhsa_reserve_vcc 1
		.amdhsa_reserve_flat_scratch 0
		.amdhsa_float_round_mode_32 0
		.amdhsa_float_round_mode_16_64 0
		.amdhsa_float_denorm_mode_32 3
		.amdhsa_float_denorm_mode_16_64 3
		.amdhsa_dx10_clamp 1
		.amdhsa_ieee_mode 1
		.amdhsa_fp16_overflow 0
		.amdhsa_workgroup_processor_mode 1
		.amdhsa_memory_ordered 1
		.amdhsa_forward_progress 1
		.amdhsa_shared_vgpr_count 0
		.amdhsa_exception_fp_ieee_invalid_op 0
		.amdhsa_exception_fp_denorm_src 0
		.amdhsa_exception_fp_ieee_div_zero 0
		.amdhsa_exception_fp_ieee_overflow 0
		.amdhsa_exception_fp_ieee_underflow 0
		.amdhsa_exception_fp_ieee_inexact 0
		.amdhsa_exception_int_div_zero 0
	.end_amdhsa_kernel
	.section	.text._ZN7rocprim17ROCPRIM_400000_NS6detail31init_lookback_scan_state_kernelINS1_19lookback_scan_stateIlLb0ELb1EEENS1_16ordered_block_idIjEEEEvT_jT0_jPNS7_10value_typeE,"axG",@progbits,_ZN7rocprim17ROCPRIM_400000_NS6detail31init_lookback_scan_state_kernelINS1_19lookback_scan_stateIlLb0ELb1EEENS1_16ordered_block_idIjEEEEvT_jT0_jPNS7_10value_typeE,comdat
.Lfunc_end19:
	.size	_ZN7rocprim17ROCPRIM_400000_NS6detail31init_lookback_scan_state_kernelINS1_19lookback_scan_stateIlLb0ELb1EEENS1_16ordered_block_idIjEEEEvT_jT0_jPNS7_10value_typeE, .Lfunc_end19-_ZN7rocprim17ROCPRIM_400000_NS6detail31init_lookback_scan_state_kernelINS1_19lookback_scan_stateIlLb0ELb1EEENS1_16ordered_block_idIjEEEEvT_jT0_jPNS7_10value_typeE
                                        ; -- End function
	.set _ZN7rocprim17ROCPRIM_400000_NS6detail31init_lookback_scan_state_kernelINS1_19lookback_scan_stateIlLb0ELb1EEENS1_16ordered_block_idIjEEEEvT_jT0_jPNS7_10value_typeE.num_vgpr, 8
	.set _ZN7rocprim17ROCPRIM_400000_NS6detail31init_lookback_scan_state_kernelINS1_19lookback_scan_stateIlLb0ELb1EEENS1_16ordered_block_idIjEEEEvT_jT0_jPNS7_10value_typeE.num_agpr, 0
	.set _ZN7rocprim17ROCPRIM_400000_NS6detail31init_lookback_scan_state_kernelINS1_19lookback_scan_stateIlLb0ELb1EEENS1_16ordered_block_idIjEEEEvT_jT0_jPNS7_10value_typeE.numbered_sgpr, 11
	.set _ZN7rocprim17ROCPRIM_400000_NS6detail31init_lookback_scan_state_kernelINS1_19lookback_scan_stateIlLb0ELb1EEENS1_16ordered_block_idIjEEEEvT_jT0_jPNS7_10value_typeE.num_named_barrier, 0
	.set _ZN7rocprim17ROCPRIM_400000_NS6detail31init_lookback_scan_state_kernelINS1_19lookback_scan_stateIlLb0ELb1EEENS1_16ordered_block_idIjEEEEvT_jT0_jPNS7_10value_typeE.private_seg_size, 0
	.set _ZN7rocprim17ROCPRIM_400000_NS6detail31init_lookback_scan_state_kernelINS1_19lookback_scan_stateIlLb0ELb1EEENS1_16ordered_block_idIjEEEEvT_jT0_jPNS7_10value_typeE.uses_vcc, 1
	.set _ZN7rocprim17ROCPRIM_400000_NS6detail31init_lookback_scan_state_kernelINS1_19lookback_scan_stateIlLb0ELb1EEENS1_16ordered_block_idIjEEEEvT_jT0_jPNS7_10value_typeE.uses_flat_scratch, 0
	.set _ZN7rocprim17ROCPRIM_400000_NS6detail31init_lookback_scan_state_kernelINS1_19lookback_scan_stateIlLb0ELb1EEENS1_16ordered_block_idIjEEEEvT_jT0_jPNS7_10value_typeE.has_dyn_sized_stack, 0
	.set _ZN7rocprim17ROCPRIM_400000_NS6detail31init_lookback_scan_state_kernelINS1_19lookback_scan_stateIlLb0ELb1EEENS1_16ordered_block_idIjEEEEvT_jT0_jPNS7_10value_typeE.has_recursion, 0
	.set _ZN7rocprim17ROCPRIM_400000_NS6detail31init_lookback_scan_state_kernelINS1_19lookback_scan_stateIlLb0ELb1EEENS1_16ordered_block_idIjEEEEvT_jT0_jPNS7_10value_typeE.has_indirect_call, 0
	.section	.AMDGPU.csdata,"",@progbits
; Kernel info:
; codeLenInByte = 468
; TotalNumSgprs: 13
; NumVgprs: 8
; ScratchSize: 0
; MemoryBound: 0
; FloatMode: 240
; IeeeMode: 1
; LDSByteSize: 0 bytes/workgroup (compile time only)
; SGPRBlocks: 0
; VGPRBlocks: 0
; NumSGPRsForWavesPerEU: 13
; NumVGPRsForWavesPerEU: 8
; Occupancy: 16
; WaveLimiterHint : 0
; COMPUTE_PGM_RSRC2:SCRATCH_EN: 0
; COMPUTE_PGM_RSRC2:USER_SGPR: 6
; COMPUTE_PGM_RSRC2:TRAP_HANDLER: 0
; COMPUTE_PGM_RSRC2:TGID_X_EN: 1
; COMPUTE_PGM_RSRC2:TGID_Y_EN: 0
; COMPUTE_PGM_RSRC2:TGID_Z_EN: 0
; COMPUTE_PGM_RSRC2:TIDIG_COMP_CNT: 0
	.section	.text._ZN6thrust23THRUST_200600_302600_NS11hip_rocprim14__parallel_for6kernelILj256EZNS1_16__set_operations9doit_stepILb0ENS0_6detail15normal_iteratorINS0_10device_ptrIKiEEEESB_PiSC_lNS7_INS8_IiEEEESC_NS0_4lessIiEENS4_16serial_set_unionEEE10hipError_tPvRmT0_T1_T2_T3_T4_SP_T5_T6_PSP_T7_T8_P12ihipStream_tbEUllE_jLj1EEEvSL_SM_SM_,"axG",@progbits,_ZN6thrust23THRUST_200600_302600_NS11hip_rocprim14__parallel_for6kernelILj256EZNS1_16__set_operations9doit_stepILb0ENS0_6detail15normal_iteratorINS0_10device_ptrIKiEEEESB_PiSC_lNS7_INS8_IiEEEESC_NS0_4lessIiEENS4_16serial_set_unionEEE10hipError_tPvRmT0_T1_T2_T3_T4_SP_T5_T6_PSP_T7_T8_P12ihipStream_tbEUllE_jLj1EEEvSL_SM_SM_,comdat
	.protected	_ZN6thrust23THRUST_200600_302600_NS11hip_rocprim14__parallel_for6kernelILj256EZNS1_16__set_operations9doit_stepILb0ENS0_6detail15normal_iteratorINS0_10device_ptrIKiEEEESB_PiSC_lNS7_INS8_IiEEEESC_NS0_4lessIiEENS4_16serial_set_unionEEE10hipError_tPvRmT0_T1_T2_T3_T4_SP_T5_T6_PSP_T7_T8_P12ihipStream_tbEUllE_jLj1EEEvSL_SM_SM_ ; -- Begin function _ZN6thrust23THRUST_200600_302600_NS11hip_rocprim14__parallel_for6kernelILj256EZNS1_16__set_operations9doit_stepILb0ENS0_6detail15normal_iteratorINS0_10device_ptrIKiEEEESB_PiSC_lNS7_INS8_IiEEEESC_NS0_4lessIiEENS4_16serial_set_unionEEE10hipError_tPvRmT0_T1_T2_T3_T4_SP_T5_T6_PSP_T7_T8_P12ihipStream_tbEUllE_jLj1EEEvSL_SM_SM_
	.globl	_ZN6thrust23THRUST_200600_302600_NS11hip_rocprim14__parallel_for6kernelILj256EZNS1_16__set_operations9doit_stepILb0ENS0_6detail15normal_iteratorINS0_10device_ptrIKiEEEESB_PiSC_lNS7_INS8_IiEEEESC_NS0_4lessIiEENS4_16serial_set_unionEEE10hipError_tPvRmT0_T1_T2_T3_T4_SP_T5_T6_PSP_T7_T8_P12ihipStream_tbEUllE_jLj1EEEvSL_SM_SM_
	.p2align	8
	.type	_ZN6thrust23THRUST_200600_302600_NS11hip_rocprim14__parallel_for6kernelILj256EZNS1_16__set_operations9doit_stepILb0ENS0_6detail15normal_iteratorINS0_10device_ptrIKiEEEESB_PiSC_lNS7_INS8_IiEEEESC_NS0_4lessIiEENS4_16serial_set_unionEEE10hipError_tPvRmT0_T1_T2_T3_T4_SP_T5_T6_PSP_T7_T8_P12ihipStream_tbEUllE_jLj1EEEvSL_SM_SM_,@function
_ZN6thrust23THRUST_200600_302600_NS11hip_rocprim14__parallel_for6kernelILj256EZNS1_16__set_operations9doit_stepILb0ENS0_6detail15normal_iteratorINS0_10device_ptrIKiEEEESB_PiSC_lNS7_INS8_IiEEEESC_NS0_4lessIiEENS4_16serial_set_unionEEE10hipError_tPvRmT0_T1_T2_T3_T4_SP_T5_T6_PSP_T7_T8_P12ihipStream_tbEUllE_jLj1EEEvSL_SM_SM_: ; @_ZN6thrust23THRUST_200600_302600_NS11hip_rocprim14__parallel_for6kernelILj256EZNS1_16__set_operations9doit_stepILb0ENS0_6detail15normal_iteratorINS0_10device_ptrIKiEEEESB_PiSC_lNS7_INS8_IiEEEESC_NS0_4lessIiEENS4_16serial_set_unionEEE10hipError_tPvRmT0_T1_T2_T3_T4_SP_T5_T6_PSP_T7_T8_P12ihipStream_tbEUllE_jLj1EEEvSL_SM_SM_
; %bb.0:
	s_clause 0x2
	s_load_dwordx2 s[0:1], s[4:5], 0x30
	s_load_dwordx2 s[2:3], s[4:5], 0x20
	s_load_dwordx8 s[8:15], s[4:5], 0x0
	s_lshl_b32 s4, s6, 8
	s_waitcnt lgkmcnt(0)
	s_add_i32 s1, s1, s4
	s_sub_i32 s4, s0, s1
	s_mov_b32 s0, -1
	s_cmpk_gt_u32 s4, 0xff
	s_cbranch_scc0 .LBB20_3
; %bb.1:
	s_andn2_b32 vcc_lo, exec_lo, s0
	s_cbranch_vccz .LBB20_40
.LBB20_2:
	s_endpgm
.LBB20_3:
	v_cmp_gt_u32_e32 vcc_lo, s4, v0
	s_and_saveexec_b32 s4, vcc_lo
	s_cbranch_execz .LBB20_39
; %bb.4:
	v_add_nc_u32_e32 v3, s1, v0
	s_add_u32 s6, s10, s8
	s_addc_u32 s7, s11, s9
	v_mov_b32_e32 v4, 0
	s_mov_b32 s5, 0
	v_mad_u64_u32 v[1:2], null, 0xfff, v3, 0
	v_cmp_lt_i64_e32 vcc_lo, s[6:7], v[1:2]
	v_cndmask_b32_e64 v5, v1, s6, vcc_lo
	v_cndmask_b32_e64 v6, v2, s7, vcc_lo
	v_sub_co_u32 v1, vcc_lo, v5, s10
	v_subrev_co_ci_u32_e64 v2, null, s11, v6, vcc_lo
	v_cmp_lt_i64_e64 s0, s[8:9], v[5:6]
	v_cmp_lt_i64_e32 vcc_lo, 0, v[1:2]
	v_cndmask_b32_e64 v8, v6, s9, s0
	v_cndmask_b32_e64 v7, v5, s8, s0
	s_mov_b32 s0, exec_lo
	v_cndmask_b32_e32 v2, 0, v2, vcc_lo
	v_cndmask_b32_e32 v1, 0, v1, vcc_lo
	v_cmpx_lt_i64_e64 v[1:2], v[7:8]
	s_cbranch_execz .LBB20_8
; %bb.5:
	v_lshlrev_b64 v[9:10], 2, v[5:6]
	v_add_co_u32 v9, vcc_lo, s2, v9
	v_add_co_ci_u32_e64 v10, null, s3, v10, vcc_lo
	s_inst_prefetch 0x1
	.p2align	6
.LBB20_6:                               ; =>This Inner Loop Header: Depth=1
	v_add_co_u32 v11, vcc_lo, v7, v1
	v_add_co_ci_u32_e64 v12, null, v8, v2, vcc_lo
	v_lshrrev_b64 v[11:12], 1, v[11:12]
	v_lshlrev_b64 v[13:14], 2, v[11:12]
	v_xor_b32_e32 v15, -4, v13
	v_xor_b32_e32 v16, -1, v14
	v_add_co_u32 v13, vcc_lo, s14, v13
	v_add_co_ci_u32_e64 v14, null, s15, v14, vcc_lo
	v_add_co_u32 v15, vcc_lo, v9, v15
	v_add_co_ci_u32_e64 v16, null, v10, v16, vcc_lo
	global_load_dword v13, v[13:14], off
	global_load_dword v14, v[15:16], off
	v_add_co_u32 v15, vcc_lo, v11, 1
	v_add_co_ci_u32_e64 v16, null, 0, v12, vcc_lo
	s_waitcnt vmcnt(0)
	v_cmp_lt_i32_e32 vcc_lo, v14, v13
	v_cndmask_b32_e32 v8, v8, v12, vcc_lo
	v_cndmask_b32_e32 v7, v7, v11, vcc_lo
	;; [unrolled: 1-line block ×4, first 2 shown]
	v_cmp_ge_i64_e32 vcc_lo, v[1:2], v[7:8]
	s_or_b32 s5, vcc_lo, s5
	s_andn2_b32 exec_lo, exec_lo, s5
	s_cbranch_execnz .LBB20_6
; %bb.7:
	s_inst_prefetch 0x2
	s_or_b32 exec_lo, exec_lo, s5
.LBB20_8:
	s_or_b32 exec_lo, exec_lo, s0
	v_sub_co_u32 v11, vcc_lo, v5, v1
	v_mov_b32_e32 v9, 0
	v_sub_co_ci_u32_e64 v12, null, v6, v2, vcc_lo
	v_mov_b32_e32 v10, 0
	s_mov_b32 s5, exec_lo
	v_cmpx_gt_i64_e64 s[10:11], v[11:12]
	s_cbranch_execz .LBB20_38
; %bb.9:
	v_lshlrev_b64 v[7:8], 2, v[11:12]
	v_mov_b32_e32 v13, 0
	v_mov_b32_e32 v14, 0
	s_mov_b32 s0, exec_lo
	v_add_co_u32 v9, vcc_lo, s2, v7
	v_add_co_ci_u32_e64 v10, null, s3, v8, vcc_lo
	v_mov_b32_e32 v7, 0
	v_mov_b32_e32 v8, 0
	global_load_dword v19, v[9:10], off
	v_cmpx_lt_i64_e32 0, v[1:2]
	s_cbranch_execnz .LBB20_14
; %bb.10:
	s_or_b32 exec_lo, exec_lo, s0
	s_mov_b32 s0, exec_lo
	v_cmpx_lt_u64_e64 v[7:8], v[13:14]
	s_cbranch_execnz .LBB20_15
.LBB20_11:
	s_or_b32 exec_lo, exec_lo, s0
	s_mov_b32 s0, exec_lo
	v_cmpx_lt_u64_e64 v[7:8], v[13:14]
	s_cbranch_execnz .LBB20_16
.LBB20_12:
	s_or_b32 exec_lo, exec_lo, s0
	s_mov_b32 s0, exec_lo
	v_cmpx_lt_u64_e64 v[7:8], v[13:14]
	s_cbranch_execnz .LBB20_17
.LBB20_13:
	s_or_b32 exec_lo, exec_lo, s0
	s_mov_b32 s0, exec_lo
	v_cmpx_lt_u64_e64 v[7:8], v[13:14]
	s_cbranch_execnz .LBB20_18
	s_branch .LBB20_21
.LBB20_14:
	v_mad_u64_u32 v[7:8], null, 0x1ff, v1, 0
	v_mad_u64_u32 v[13:14], null, 0x1ff, v2, v[8:9]
	v_mov_b32_e32 v8, v13
	v_lshrrev_b64 v[13:14], 9, v[7:8]
	v_lshlrev_b64 v[7:8], 2, v[13:14]
	v_add_co_u32 v7, vcc_lo, s14, v7
	v_add_co_ci_u32_e64 v8, null, s15, v8, vcc_lo
	v_add_co_u32 v15, vcc_lo, v13, 1
	global_load_dword v7, v[7:8], off
	v_add_co_ci_u32_e64 v8, null, 0, v14, vcc_lo
	s_waitcnt vmcnt(0)
	v_cmp_lt_i32_e32 vcc_lo, v7, v19
	v_cndmask_b32_e32 v8, 0, v8, vcc_lo
	v_cndmask_b32_e32 v7, 0, v15, vcc_lo
	;; [unrolled: 1-line block ×4, first 2 shown]
	s_or_b32 exec_lo, exec_lo, s0
	s_mov_b32 s0, exec_lo
	v_cmpx_lt_u64_e64 v[7:8], v[13:14]
	s_cbranch_execz .LBB20_11
.LBB20_15:
	v_mad_u64_u32 v[15:16], null, 0x7f, v13, v[7:8]
	v_mad_u64_u32 v[16:17], null, 0x7f, v14, v[16:17]
	v_lshrrev_b64 v[15:16], 7, v[15:16]
	v_lshlrev_b64 v[17:18], 2, v[15:16]
	v_add_co_u32 v17, vcc_lo, s14, v17
	v_add_co_ci_u32_e64 v18, null, s15, v18, vcc_lo
	global_load_dword v17, v[17:18], off
	v_add_co_u32 v18, vcc_lo, v15, 1
	v_add_co_ci_u32_e64 v20, null, 0, v16, vcc_lo
	s_waitcnt vmcnt(0)
	v_cmp_lt_i32_e32 vcc_lo, v17, v19
	v_cndmask_b32_e32 v8, v8, v20, vcc_lo
	v_cndmask_b32_e32 v7, v7, v18, vcc_lo
	;; [unrolled: 1-line block ×4, first 2 shown]
	s_or_b32 exec_lo, exec_lo, s0
	s_mov_b32 s0, exec_lo
	v_cmpx_lt_u64_e64 v[7:8], v[13:14]
	s_cbranch_execz .LBB20_12
.LBB20_16:
	v_mad_u64_u32 v[15:16], null, v13, 31, v[7:8]
	v_mad_u64_u32 v[16:17], null, v14, 31, v[16:17]
	v_lshrrev_b64 v[15:16], 5, v[15:16]
	v_lshlrev_b64 v[17:18], 2, v[15:16]
	v_add_co_u32 v17, vcc_lo, s14, v17
	v_add_co_ci_u32_e64 v18, null, s15, v18, vcc_lo
	global_load_dword v17, v[17:18], off
	v_add_co_u32 v18, vcc_lo, v15, 1
	v_add_co_ci_u32_e64 v20, null, 0, v16, vcc_lo
	s_waitcnt vmcnt(0)
	v_cmp_lt_i32_e32 vcc_lo, v17, v19
	v_cndmask_b32_e32 v8, v8, v20, vcc_lo
	v_cndmask_b32_e32 v7, v7, v18, vcc_lo
	;; [unrolled: 1-line block ×4, first 2 shown]
	s_or_b32 exec_lo, exec_lo, s0
	s_mov_b32 s0, exec_lo
	v_cmpx_lt_u64_e64 v[7:8], v[13:14]
	s_cbranch_execz .LBB20_13
.LBB20_17:
	v_mad_u64_u32 v[15:16], null, v13, 15, v[7:8]
	v_mad_u64_u32 v[16:17], null, v14, 15, v[16:17]
	v_lshrrev_b64 v[15:16], 4, v[15:16]
	v_lshlrev_b64 v[17:18], 2, v[15:16]
	v_add_co_u32 v17, vcc_lo, s14, v17
	v_add_co_ci_u32_e64 v18, null, s15, v18, vcc_lo
	global_load_dword v17, v[17:18], off
	v_add_co_u32 v18, vcc_lo, v15, 1
	v_add_co_ci_u32_e64 v20, null, 0, v16, vcc_lo
	s_waitcnt vmcnt(0)
	v_cmp_lt_i32_e32 vcc_lo, v17, v19
	v_cndmask_b32_e32 v8, v8, v20, vcc_lo
	v_cndmask_b32_e32 v7, v7, v18, vcc_lo
	;; [unrolled: 1-line block ×4, first 2 shown]
	s_or_b32 exec_lo, exec_lo, s0
	s_mov_b32 s0, exec_lo
	v_cmpx_lt_u64_e64 v[7:8], v[13:14]
	s_cbranch_execz .LBB20_21
.LBB20_18:
	s_mov_b32 s6, 0
	.p2align	6
.LBB20_19:                              ; =>This Inner Loop Header: Depth=1
	v_add_co_u32 v15, vcc_lo, v7, v13
	v_add_co_ci_u32_e64 v16, null, v8, v14, vcc_lo
	v_lshrrev_b64 v[15:16], 1, v[15:16]
	v_lshlrev_b64 v[17:18], 2, v[15:16]
	v_add_co_u32 v17, vcc_lo, s14, v17
	v_add_co_ci_u32_e64 v18, null, s15, v18, vcc_lo
	global_load_dword v17, v[17:18], off
	v_add_co_u32 v18, vcc_lo, v15, 1
	v_add_co_ci_u32_e64 v20, null, 0, v16, vcc_lo
	s_waitcnt vmcnt(0)
	v_cmp_lt_i32_e32 vcc_lo, v17, v19
	v_cndmask_b32_e32 v8, v8, v20, vcc_lo
	v_cndmask_b32_e32 v7, v7, v18, vcc_lo
	;; [unrolled: 1-line block ×4, first 2 shown]
	v_cmp_ge_i64_e32 vcc_lo, v[7:8], v[13:14]
	s_or_b32 s6, vcc_lo, s6
	s_andn2_b32 exec_lo, exec_lo, s6
	s_cbranch_execnz .LBB20_19
; %bb.20:
	s_or_b32 exec_lo, exec_lo, s6
.LBB20_21:
	s_or_b32 exec_lo, exec_lo, s0
	v_mov_b32_e32 v13, 0
	v_mov_b32_e32 v16, v12
	;; [unrolled: 1-line block ×4, first 2 shown]
	s_mov_b32 s0, exec_lo
	v_cmpx_lt_i64_e32 0, v[11:12]
	s_cbranch_execnz .LBB20_26
; %bb.22:
	s_or_b32 exec_lo, exec_lo, s0
	s_mov_b32 s0, exec_lo
	v_cmpx_lt_i64_e64 v[13:14], v[15:16]
	s_cbranch_execnz .LBB20_27
.LBB20_23:
	s_or_b32 exec_lo, exec_lo, s0
	s_mov_b32 s0, exec_lo
	v_cmpx_lt_i64_e64 v[13:14], v[15:16]
	s_cbranch_execnz .LBB20_28
.LBB20_24:
	s_or_b32 exec_lo, exec_lo, s0
	s_mov_b32 s0, exec_lo
	v_cmpx_lt_i64_e64 v[13:14], v[15:16]
	s_cbranch_execnz .LBB20_29
.LBB20_25:
	s_or_b32 exec_lo, exec_lo, s0
	s_mov_b32 s0, exec_lo
	v_cmpx_lt_i64_e64 v[13:14], v[15:16]
	s_cbranch_execnz .LBB20_30
	s_branch .LBB20_33
.LBB20_26:
	v_mad_u64_u32 v[13:14], null, 0x1ff, v11, 0
	v_mad_u64_u32 v[14:15], null, 0x1ff, v12, v[14:15]
	v_lshrrev_b64 v[15:16], 9, v[13:14]
	v_lshlrev_b64 v[13:14], 2, v[15:16]
	v_add_co_u32 v13, vcc_lo, s2, v13
	v_add_co_ci_u32_e64 v14, null, s3, v14, vcc_lo
	v_add_co_u32 v17, vcc_lo, v15, 1
	global_load_dword v13, v[13:14], off
	v_add_co_ci_u32_e64 v14, null, 0, v16, vcc_lo
	s_waitcnt vmcnt(0)
	v_cmp_lt_i32_e32 vcc_lo, v13, v19
	v_cndmask_b32_e32 v14, 0, v14, vcc_lo
	v_cndmask_b32_e32 v13, 0, v17, vcc_lo
	;; [unrolled: 1-line block ×4, first 2 shown]
	s_or_b32 exec_lo, exec_lo, s0
	s_mov_b32 s0, exec_lo
	v_cmpx_lt_i64_e64 v[13:14], v[15:16]
	s_cbranch_execz .LBB20_23
.LBB20_27:
	v_mad_u64_u32 v[17:18], null, 0x7f, v15, v[13:14]
	s_waitcnt vmcnt(0)
	v_mad_u64_u32 v[20:21], null, 0x7f, v16, v[18:19]
	v_mov_b32_e32 v18, v20
	v_lshrrev_b64 v[17:18], 7, v[17:18]
	v_lshlrev_b64 v[20:21], 2, v[17:18]
	v_add_co_u32 v20, vcc_lo, s2, v20
	v_add_co_ci_u32_e64 v21, null, s3, v21, vcc_lo
	global_load_dword v20, v[20:21], off
	v_add_co_u32 v21, vcc_lo, v17, 1
	v_add_co_ci_u32_e64 v22, null, 0, v18, vcc_lo
	s_waitcnt vmcnt(0)
	v_cmp_lt_i32_e32 vcc_lo, v20, v19
	v_cndmask_b32_e32 v14, v14, v22, vcc_lo
	v_cndmask_b32_e32 v13, v13, v21, vcc_lo
	;; [unrolled: 1-line block ×4, first 2 shown]
	s_or_b32 exec_lo, exec_lo, s0
	s_mov_b32 s0, exec_lo
	v_cmpx_lt_i64_e64 v[13:14], v[15:16]
	s_cbranch_execz .LBB20_24
.LBB20_28:
	v_mad_u64_u32 v[17:18], null, v15, 31, v[13:14]
	s_waitcnt vmcnt(0)
	v_mad_u64_u32 v[20:21], null, v16, 31, v[18:19]
	v_mov_b32_e32 v18, v20
	v_lshrrev_b64 v[17:18], 5, v[17:18]
	v_lshlrev_b64 v[20:21], 2, v[17:18]
	v_add_co_u32 v20, vcc_lo, s2, v20
	v_add_co_ci_u32_e64 v21, null, s3, v21, vcc_lo
	global_load_dword v20, v[20:21], off
	v_add_co_u32 v21, vcc_lo, v17, 1
	v_add_co_ci_u32_e64 v22, null, 0, v18, vcc_lo
	s_waitcnt vmcnt(0)
	v_cmp_lt_i32_e32 vcc_lo, v20, v19
	v_cndmask_b32_e32 v14, v14, v22, vcc_lo
	v_cndmask_b32_e32 v13, v13, v21, vcc_lo
	v_cndmask_b32_e32 v16, v18, v16, vcc_lo
	v_cndmask_b32_e32 v15, v17, v15, vcc_lo
	s_or_b32 exec_lo, exec_lo, s0
	s_mov_b32 s0, exec_lo
	v_cmpx_lt_i64_e64 v[13:14], v[15:16]
	s_cbranch_execz .LBB20_25
.LBB20_29:
	v_mad_u64_u32 v[17:18], null, v15, 15, v[13:14]
	s_waitcnt vmcnt(0)
	v_mad_u64_u32 v[20:21], null, v16, 15, v[18:19]
	v_mov_b32_e32 v18, v20
	v_lshrrev_b64 v[17:18], 4, v[17:18]
	v_lshlrev_b64 v[20:21], 2, v[17:18]
	v_add_co_u32 v20, vcc_lo, s2, v20
	v_add_co_ci_u32_e64 v21, null, s3, v21, vcc_lo
	global_load_dword v20, v[20:21], off
	v_add_co_u32 v21, vcc_lo, v17, 1
	v_add_co_ci_u32_e64 v22, null, 0, v18, vcc_lo
	s_waitcnt vmcnt(0)
	v_cmp_lt_i32_e32 vcc_lo, v20, v19
	v_cndmask_b32_e32 v14, v14, v22, vcc_lo
	v_cndmask_b32_e32 v13, v13, v21, vcc_lo
	;; [unrolled: 1-line block ×4, first 2 shown]
	s_or_b32 exec_lo, exec_lo, s0
	s_mov_b32 s0, exec_lo
	v_cmpx_lt_i64_e64 v[13:14], v[15:16]
	s_cbranch_execz .LBB20_33
.LBB20_30:
	s_mov_b32 s6, 0
	.p2align	6
.LBB20_31:                              ; =>This Inner Loop Header: Depth=1
	v_add_co_u32 v17, vcc_lo, v13, v15
	v_add_co_ci_u32_e64 v18, null, v14, v16, vcc_lo
	v_lshrrev_b64 v[17:18], 1, v[17:18]
	v_lshlrev_b64 v[20:21], 2, v[17:18]
	v_add_co_u32 v20, vcc_lo, s2, v20
	v_add_co_ci_u32_e64 v21, null, s3, v21, vcc_lo
	global_load_dword v20, v[20:21], off
	v_add_co_u32 v21, vcc_lo, v17, 1
	v_add_co_ci_u32_e64 v22, null, 0, v18, vcc_lo
	s_waitcnt vmcnt(0)
	v_cmp_lt_i32_e32 vcc_lo, v20, v19
	v_cndmask_b32_e32 v14, v14, v22, vcc_lo
	v_cndmask_b32_e32 v13, v13, v21, vcc_lo
	;; [unrolled: 1-line block ×4, first 2 shown]
	v_cmp_ge_i64_e32 vcc_lo, v[13:14], v[15:16]
	s_or_b32 s6, vcc_lo, s6
	s_andn2_b32 exec_lo, exec_lo, s6
	s_cbranch_execnz .LBB20_31
; %bb.32:
	s_or_b32 exec_lo, exec_lo, s6
.LBB20_33:
	s_or_b32 exec_lo, exec_lo, s0
	v_sub_co_u32 v1, vcc_lo, v1, v7
	v_sub_co_ci_u32_e64 v2, null, v2, v8, vcc_lo
	v_sub_co_u32 v17, vcc_lo, v11, v13
	v_sub_co_ci_u32_e64 v18, null, v12, v14, vcc_lo
	s_mov_b32 s0, exec_lo
	v_add_co_u32 v15, vcc_lo, v17, v1
	v_add_co_ci_u32_e64 v16, null, v18, v2, vcc_lo
	v_ashrrev_i64 v[1:2], 1, v[15:16]
	v_cmp_gt_i64_e32 vcc_lo, v[1:2], v[17:18]
	v_cndmask_b32_e32 v1, v17, v1, vcc_lo
	v_cndmask_b32_e32 v2, v18, v2, vcc_lo
	v_add_co_u32 v13, vcc_lo, v13, v1
	v_add_co_ci_u32_e64 v14, null, v14, v2, vcc_lo
	v_add_co_u32 v13, vcc_lo, v13, 1
	v_add_co_ci_u32_e64 v14, null, 0, v14, vcc_lo
	v_cmp_gt_i64_e32 vcc_lo, s[10:11], v[13:14]
	v_cndmask_b32_e32 v13, s10, v13, vcc_lo
	v_cndmask_b32_e32 v14, s11, v14, vcc_lo
	v_sub_co_u32 v13, vcc_lo, v13, v11
	v_sub_co_ci_u32_e64 v14, null, v14, v12, vcc_lo
	v_mov_b32_e32 v11, 0
	v_mov_b32_e32 v12, 0
	v_cmpx_lt_i64_e32 0, v[13:14]
	s_cbranch_execz .LBB20_37
; %bb.34:
	v_mov_b32_e32 v11, 0
	v_mov_b32_e32 v12, 0
	s_mov_b32 s6, 0
	.p2align	6
.LBB20_35:                              ; =>This Inner Loop Header: Depth=1
	v_add_co_u32 v20, vcc_lo, v11, v13
	v_add_co_ci_u32_e64 v21, null, v12, v14, vcc_lo
	v_lshrrev_b64 v[20:21], 1, v[20:21]
	v_lshlrev_b64 v[22:23], 2, v[20:21]
	v_add_co_u32 v22, vcc_lo, v9, v22
	v_add_co_ci_u32_e64 v23, null, v10, v23, vcc_lo
	global_load_dword v22, v[22:23], off
	v_add_co_u32 v23, vcc_lo, v20, 1
	v_add_co_ci_u32_e64 v24, null, 0, v21, vcc_lo
	s_waitcnt vmcnt(0)
	v_cmp_lt_i32_e32 vcc_lo, v19, v22
	v_cndmask_b32_e32 v12, v24, v12, vcc_lo
	v_cndmask_b32_e32 v11, v23, v11, vcc_lo
	v_cndmask_b32_e32 v14, v14, v21, vcc_lo
	v_cndmask_b32_e32 v13, v13, v20, vcc_lo
	v_cmp_ge_i64_e32 vcc_lo, v[11:12], v[13:14]
	s_or_b32 s6, vcc_lo, s6
	s_andn2_b32 exec_lo, exec_lo, s6
	s_cbranch_execnz .LBB20_35
; %bb.36:
	s_or_b32 exec_lo, exec_lo, s6
	v_ashrrev_i32_e32 v12, 31, v11
.LBB20_37:
	s_or_b32 exec_lo, exec_lo, s0
	v_add_co_u32 v9, vcc_lo, v11, v17
	v_add_co_ci_u32_e64 v10, null, v12, v18, vcc_lo
	s_mov_b32 s6, 0
	v_cmp_lt_i64_e32 vcc_lo, v[9:10], v[1:2]
	v_cndmask_b32_e32 v13, v1, v9, vcc_lo
	v_cndmask_b32_e32 v14, v2, v10, vcc_lo
	v_sub_co_u32 v11, vcc_lo, v15, v13
	v_sub_co_ci_u32_e64 v12, null, v16, v14, vcc_lo
	v_add_co_u32 v13, vcc_lo, v13, 1
	v_add_co_ci_u32_e64 v14, null, 0, v14, vcc_lo
	v_cmp_lt_i64_e32 vcc_lo, v[1:2], v[9:10]
	v_mov_b32_e32 v10, s6
	v_cmp_eq_u64_e64 s0, v[11:12], v[13:14]
	s_and_b32 s0, s0, vcc_lo
	v_add_co_u32 v1, vcc_lo, v11, v7
	v_cndmask_b32_e64 v9, 0, 1, s0
	v_add_co_ci_u32_e64 v2, null, v12, v8, vcc_lo
.LBB20_38:
	s_or_b32 exec_lo, exec_lo, s5
	v_lshlrev_b64 v[3:4], 4, v[3:4]
	v_add_co_u32 v7, vcc_lo, v9, v5
	v_add_co_ci_u32_e64 v8, null, v10, v6, vcc_lo
	v_add_co_u32 v5, vcc_lo, s12, v3
	v_add_co_ci_u32_e64 v6, null, s13, v4, vcc_lo
	v_sub_co_u32 v3, vcc_lo, v7, v1
	v_sub_co_ci_u32_e64 v4, null, v8, v2, vcc_lo
	global_store_dwordx4 v[5:6], v[1:4], off
.LBB20_39:
	s_or_b32 exec_lo, exec_lo, s4
	s_cbranch_execnz .LBB20_2
.LBB20_40:
	v_add_nc_u32_e32 v2, s1, v0
	s_add_u32 s0, s10, s8
	s_addc_u32 s1, s11, s9
	v_mov_b32_e32 v3, 0
	v_mad_u64_u32 v[0:1], null, 0xfff, v2, 0
	v_cmp_lt_i64_e32 vcc_lo, s[0:1], v[0:1]
	v_cndmask_b32_e64 v4, v0, s0, vcc_lo
	v_cndmask_b32_e64 v5, v1, s1, vcc_lo
	s_mov_b32 s1, 0
	v_sub_co_u32 v0, vcc_lo, v4, s10
	v_subrev_co_ci_u32_e64 v1, null, s11, v5, vcc_lo
	v_cmp_lt_i64_e64 s0, s[8:9], v[4:5]
	v_cmp_lt_i64_e32 vcc_lo, 0, v[0:1]
	v_cndmask_b32_e64 v7, v5, s9, s0
	v_cndmask_b32_e64 v6, v4, s8, s0
	s_mov_b32 s0, exec_lo
	v_cndmask_b32_e32 v1, 0, v1, vcc_lo
	v_cndmask_b32_e32 v0, 0, v0, vcc_lo
	v_cmpx_lt_i64_e64 v[0:1], v[6:7]
	s_cbranch_execz .LBB20_44
; %bb.41:
	v_lshlrev_b64 v[8:9], 2, v[4:5]
	v_add_co_u32 v8, vcc_lo, s2, v8
	v_add_co_ci_u32_e64 v9, null, s3, v9, vcc_lo
	s_inst_prefetch 0x1
	.p2align	6
.LBB20_42:                              ; =>This Inner Loop Header: Depth=1
	v_add_co_u32 v10, vcc_lo, v6, v0
	v_add_co_ci_u32_e64 v11, null, v7, v1, vcc_lo
	v_lshrrev_b64 v[10:11], 1, v[10:11]
	v_lshlrev_b64 v[12:13], 2, v[10:11]
	v_xor_b32_e32 v14, -4, v12
	v_xor_b32_e32 v15, -1, v13
	v_add_co_u32 v12, vcc_lo, s14, v12
	v_add_co_ci_u32_e64 v13, null, s15, v13, vcc_lo
	v_add_co_u32 v14, vcc_lo, v8, v14
	v_add_co_ci_u32_e64 v15, null, v9, v15, vcc_lo
	global_load_dword v12, v[12:13], off
	global_load_dword v13, v[14:15], off
	v_add_co_u32 v14, vcc_lo, v10, 1
	v_add_co_ci_u32_e64 v15, null, 0, v11, vcc_lo
	s_waitcnt vmcnt(0)
	v_cmp_lt_i32_e32 vcc_lo, v13, v12
	v_cndmask_b32_e32 v7, v7, v11, vcc_lo
	v_cndmask_b32_e32 v6, v6, v10, vcc_lo
	;; [unrolled: 1-line block ×4, first 2 shown]
	v_cmp_ge_i64_e32 vcc_lo, v[0:1], v[6:7]
	s_or_b32 s1, vcc_lo, s1
	s_andn2_b32 exec_lo, exec_lo, s1
	s_cbranch_execnz .LBB20_42
; %bb.43:
	s_inst_prefetch 0x2
	s_or_b32 exec_lo, exec_lo, s1
.LBB20_44:
	s_or_b32 exec_lo, exec_lo, s0
	v_sub_co_u32 v10, vcc_lo, v4, v0
	v_mov_b32_e32 v8, 0
	v_sub_co_ci_u32_e64 v11, null, v5, v1, vcc_lo
	v_mov_b32_e32 v9, 0
	s_mov_b32 s1, exec_lo
	v_cmpx_gt_i64_e64 s[10:11], v[10:11]
	s_cbranch_execz .LBB20_74
; %bb.45:
	v_lshlrev_b64 v[6:7], 2, v[10:11]
	v_mov_b32_e32 v12, 0
	v_mov_b32_e32 v13, 0
	s_mov_b32 s0, exec_lo
	v_add_co_u32 v8, vcc_lo, s2, v6
	v_add_co_ci_u32_e64 v9, null, s3, v7, vcc_lo
	v_mov_b32_e32 v6, 0
	v_mov_b32_e32 v7, 0
	global_load_dword v18, v[8:9], off
	v_cmpx_lt_i64_e32 0, v[0:1]
	s_cbranch_execnz .LBB20_50
; %bb.46:
	s_or_b32 exec_lo, exec_lo, s0
	s_mov_b32 s0, exec_lo
	v_cmpx_lt_u64_e64 v[6:7], v[12:13]
	s_cbranch_execnz .LBB20_51
.LBB20_47:
	s_or_b32 exec_lo, exec_lo, s0
	s_mov_b32 s0, exec_lo
	v_cmpx_lt_u64_e64 v[6:7], v[12:13]
	s_cbranch_execnz .LBB20_52
.LBB20_48:
	s_or_b32 exec_lo, exec_lo, s0
	s_mov_b32 s0, exec_lo
	v_cmpx_lt_u64_e64 v[6:7], v[12:13]
	s_cbranch_execnz .LBB20_53
.LBB20_49:
	s_or_b32 exec_lo, exec_lo, s0
	s_mov_b32 s0, exec_lo
	v_cmpx_lt_u64_e64 v[6:7], v[12:13]
	s_cbranch_execnz .LBB20_54
	s_branch .LBB20_57
.LBB20_50:
	v_mad_u64_u32 v[6:7], null, 0x1ff, v0, 0
	v_mad_u64_u32 v[12:13], null, 0x1ff, v1, v[7:8]
	v_mov_b32_e32 v7, v12
	v_lshrrev_b64 v[12:13], 9, v[6:7]
	v_lshlrev_b64 v[6:7], 2, v[12:13]
	v_add_co_u32 v6, vcc_lo, s14, v6
	v_add_co_ci_u32_e64 v7, null, s15, v7, vcc_lo
	v_add_co_u32 v14, vcc_lo, v12, 1
	global_load_dword v6, v[6:7], off
	v_add_co_ci_u32_e64 v7, null, 0, v13, vcc_lo
	s_waitcnt vmcnt(0)
	v_cmp_lt_i32_e32 vcc_lo, v6, v18
	v_cndmask_b32_e32 v7, 0, v7, vcc_lo
	v_cndmask_b32_e32 v6, 0, v14, vcc_lo
	;; [unrolled: 1-line block ×4, first 2 shown]
	s_or_b32 exec_lo, exec_lo, s0
	s_mov_b32 s0, exec_lo
	v_cmpx_lt_u64_e64 v[6:7], v[12:13]
	s_cbranch_execz .LBB20_47
.LBB20_51:
	v_mad_u64_u32 v[14:15], null, 0x7f, v12, v[6:7]
	v_mad_u64_u32 v[15:16], null, 0x7f, v13, v[15:16]
	v_lshrrev_b64 v[14:15], 7, v[14:15]
	v_lshlrev_b64 v[16:17], 2, v[14:15]
	v_add_co_u32 v16, vcc_lo, s14, v16
	v_add_co_ci_u32_e64 v17, null, s15, v17, vcc_lo
	global_load_dword v16, v[16:17], off
	v_add_co_u32 v17, vcc_lo, v14, 1
	s_waitcnt vmcnt(2)
	v_add_co_ci_u32_e64 v19, null, 0, v15, vcc_lo
	s_waitcnt vmcnt(0)
	v_cmp_lt_i32_e32 vcc_lo, v16, v18
	v_cndmask_b32_e32 v7, v7, v19, vcc_lo
	v_cndmask_b32_e32 v6, v6, v17, vcc_lo
	v_cndmask_b32_e32 v13, v15, v13, vcc_lo
	v_cndmask_b32_e32 v12, v14, v12, vcc_lo
	s_or_b32 exec_lo, exec_lo, s0
	s_mov_b32 s0, exec_lo
	v_cmpx_lt_u64_e64 v[6:7], v[12:13]
	s_cbranch_execz .LBB20_48
.LBB20_52:
	v_mad_u64_u32 v[14:15], null, v12, 31, v[6:7]
	v_mad_u64_u32 v[15:16], null, v13, 31, v[15:16]
	v_lshrrev_b64 v[14:15], 5, v[14:15]
	v_lshlrev_b64 v[16:17], 2, v[14:15]
	v_add_co_u32 v16, vcc_lo, s14, v16
	v_add_co_ci_u32_e64 v17, null, s15, v17, vcc_lo
	global_load_dword v16, v[16:17], off
	v_add_co_u32 v17, vcc_lo, v14, 1
	s_waitcnt vmcnt(2)
	v_add_co_ci_u32_e64 v19, null, 0, v15, vcc_lo
	s_waitcnt vmcnt(0)
	v_cmp_lt_i32_e32 vcc_lo, v16, v18
	v_cndmask_b32_e32 v7, v7, v19, vcc_lo
	v_cndmask_b32_e32 v6, v6, v17, vcc_lo
	;; [unrolled: 1-line block ×4, first 2 shown]
	s_or_b32 exec_lo, exec_lo, s0
	s_mov_b32 s0, exec_lo
	v_cmpx_lt_u64_e64 v[6:7], v[12:13]
	s_cbranch_execz .LBB20_49
.LBB20_53:
	v_mad_u64_u32 v[14:15], null, v12, 15, v[6:7]
	v_mad_u64_u32 v[15:16], null, v13, 15, v[15:16]
	v_lshrrev_b64 v[14:15], 4, v[14:15]
	v_lshlrev_b64 v[16:17], 2, v[14:15]
	v_add_co_u32 v16, vcc_lo, s14, v16
	v_add_co_ci_u32_e64 v17, null, s15, v17, vcc_lo
	global_load_dword v16, v[16:17], off
	v_add_co_u32 v17, vcc_lo, v14, 1
	s_waitcnt vmcnt(2)
	v_add_co_ci_u32_e64 v19, null, 0, v15, vcc_lo
	s_waitcnt vmcnt(0)
	v_cmp_lt_i32_e32 vcc_lo, v16, v18
	v_cndmask_b32_e32 v7, v7, v19, vcc_lo
	v_cndmask_b32_e32 v6, v6, v17, vcc_lo
	;; [unrolled: 1-line block ×4, first 2 shown]
	s_or_b32 exec_lo, exec_lo, s0
	s_mov_b32 s0, exec_lo
	v_cmpx_lt_u64_e64 v[6:7], v[12:13]
	s_cbranch_execz .LBB20_57
.LBB20_54:
	s_mov_b32 s4, 0
	.p2align	6
.LBB20_55:                              ; =>This Inner Loop Header: Depth=1
	v_add_co_u32 v14, vcc_lo, v6, v12
	v_add_co_ci_u32_e64 v15, null, v7, v13, vcc_lo
	v_lshrrev_b64 v[14:15], 1, v[14:15]
	v_lshlrev_b64 v[16:17], 2, v[14:15]
	v_add_co_u32 v16, vcc_lo, s14, v16
	v_add_co_ci_u32_e64 v17, null, s15, v17, vcc_lo
	global_load_dword v16, v[16:17], off
	v_add_co_u32 v17, vcc_lo, v14, 1
	s_waitcnt vmcnt(2)
	v_add_co_ci_u32_e64 v19, null, 0, v15, vcc_lo
	s_waitcnt vmcnt(0)
	v_cmp_lt_i32_e32 vcc_lo, v16, v18
	v_cndmask_b32_e32 v7, v7, v19, vcc_lo
	v_cndmask_b32_e32 v6, v6, v17, vcc_lo
	v_cndmask_b32_e32 v13, v15, v13, vcc_lo
	v_cndmask_b32_e32 v12, v14, v12, vcc_lo
	v_cmp_ge_i64_e32 vcc_lo, v[6:7], v[12:13]
	s_or_b32 s4, vcc_lo, s4
	s_andn2_b32 exec_lo, exec_lo, s4
	s_cbranch_execnz .LBB20_55
; %bb.56:
	s_or_b32 exec_lo, exec_lo, s4
.LBB20_57:
	s_or_b32 exec_lo, exec_lo, s0
	v_mov_b32_e32 v12, 0
	v_mov_b32_e32 v15, v11
	;; [unrolled: 1-line block ×4, first 2 shown]
	s_mov_b32 s0, exec_lo
	v_cmpx_lt_i64_e32 0, v[10:11]
	s_cbranch_execnz .LBB20_62
; %bb.58:
	s_or_b32 exec_lo, exec_lo, s0
	s_mov_b32 s0, exec_lo
	v_cmpx_lt_i64_e64 v[12:13], v[14:15]
	s_cbranch_execnz .LBB20_63
.LBB20_59:
	s_or_b32 exec_lo, exec_lo, s0
	s_mov_b32 s0, exec_lo
	v_cmpx_lt_i64_e64 v[12:13], v[14:15]
	s_cbranch_execnz .LBB20_64
.LBB20_60:
	s_or_b32 exec_lo, exec_lo, s0
	s_mov_b32 s0, exec_lo
	v_cmpx_lt_i64_e64 v[12:13], v[14:15]
	s_cbranch_execnz .LBB20_65
.LBB20_61:
	s_or_b32 exec_lo, exec_lo, s0
	s_mov_b32 s0, exec_lo
	v_cmpx_lt_i64_e64 v[12:13], v[14:15]
	s_cbranch_execnz .LBB20_66
	s_branch .LBB20_69
.LBB20_62:
	v_mad_u64_u32 v[12:13], null, 0x1ff, v10, 0
	v_mad_u64_u32 v[13:14], null, 0x1ff, v11, v[13:14]
	v_lshrrev_b64 v[14:15], 9, v[12:13]
	v_lshlrev_b64 v[12:13], 2, v[14:15]
	v_add_co_u32 v12, vcc_lo, s2, v12
	v_add_co_ci_u32_e64 v13, null, s3, v13, vcc_lo
	v_add_co_u32 v16, vcc_lo, v14, 1
	global_load_dword v12, v[12:13], off
	v_add_co_ci_u32_e64 v13, null, 0, v15, vcc_lo
	s_waitcnt vmcnt(0)
	v_cmp_lt_i32_e32 vcc_lo, v12, v18
	v_cndmask_b32_e32 v13, 0, v13, vcc_lo
	v_cndmask_b32_e32 v12, 0, v16, vcc_lo
	;; [unrolled: 1-line block ×4, first 2 shown]
	s_or_b32 exec_lo, exec_lo, s0
	s_mov_b32 s0, exec_lo
	v_cmpx_lt_i64_e64 v[12:13], v[14:15]
	s_cbranch_execz .LBB20_59
.LBB20_63:
	v_mad_u64_u32 v[16:17], null, 0x7f, v14, v[12:13]
	s_waitcnt vmcnt(0)
	v_mad_u64_u32 v[19:20], null, 0x7f, v15, v[17:18]
	v_mov_b32_e32 v17, v19
	v_lshrrev_b64 v[16:17], 7, v[16:17]
	v_lshlrev_b64 v[19:20], 2, v[16:17]
	v_add_co_u32 v19, vcc_lo, s2, v19
	v_add_co_ci_u32_e64 v20, null, s3, v20, vcc_lo
	global_load_dword v19, v[19:20], off
	v_add_co_u32 v20, vcc_lo, v16, 1
	v_add_co_ci_u32_e64 v21, null, 0, v17, vcc_lo
	s_waitcnt vmcnt(0)
	v_cmp_lt_i32_e32 vcc_lo, v19, v18
	v_cndmask_b32_e32 v13, v13, v21, vcc_lo
	v_cndmask_b32_e32 v12, v12, v20, vcc_lo
	;; [unrolled: 1-line block ×4, first 2 shown]
	s_or_b32 exec_lo, exec_lo, s0
	s_mov_b32 s0, exec_lo
	v_cmpx_lt_i64_e64 v[12:13], v[14:15]
	s_cbranch_execz .LBB20_60
.LBB20_64:
	v_mad_u64_u32 v[16:17], null, v14, 31, v[12:13]
	s_waitcnt vmcnt(0)
	v_mad_u64_u32 v[19:20], null, v15, 31, v[17:18]
	v_mov_b32_e32 v17, v19
	v_lshrrev_b64 v[16:17], 5, v[16:17]
	v_lshlrev_b64 v[19:20], 2, v[16:17]
	v_add_co_u32 v19, vcc_lo, s2, v19
	v_add_co_ci_u32_e64 v20, null, s3, v20, vcc_lo
	global_load_dword v19, v[19:20], off
	v_add_co_u32 v20, vcc_lo, v16, 1
	v_add_co_ci_u32_e64 v21, null, 0, v17, vcc_lo
	s_waitcnt vmcnt(0)
	v_cmp_lt_i32_e32 vcc_lo, v19, v18
	v_cndmask_b32_e32 v13, v13, v21, vcc_lo
	v_cndmask_b32_e32 v12, v12, v20, vcc_lo
	;; [unrolled: 1-line block ×4, first 2 shown]
	s_or_b32 exec_lo, exec_lo, s0
	s_mov_b32 s0, exec_lo
	v_cmpx_lt_i64_e64 v[12:13], v[14:15]
	s_cbranch_execz .LBB20_61
.LBB20_65:
	v_mad_u64_u32 v[16:17], null, v14, 15, v[12:13]
	s_waitcnt vmcnt(0)
	v_mad_u64_u32 v[19:20], null, v15, 15, v[17:18]
	v_mov_b32_e32 v17, v19
	v_lshrrev_b64 v[16:17], 4, v[16:17]
	v_lshlrev_b64 v[19:20], 2, v[16:17]
	v_add_co_u32 v19, vcc_lo, s2, v19
	v_add_co_ci_u32_e64 v20, null, s3, v20, vcc_lo
	global_load_dword v19, v[19:20], off
	v_add_co_u32 v20, vcc_lo, v16, 1
	v_add_co_ci_u32_e64 v21, null, 0, v17, vcc_lo
	s_waitcnt vmcnt(0)
	v_cmp_lt_i32_e32 vcc_lo, v19, v18
	v_cndmask_b32_e32 v13, v13, v21, vcc_lo
	v_cndmask_b32_e32 v12, v12, v20, vcc_lo
	;; [unrolled: 1-line block ×4, first 2 shown]
	s_or_b32 exec_lo, exec_lo, s0
	s_mov_b32 s0, exec_lo
	v_cmpx_lt_i64_e64 v[12:13], v[14:15]
	s_cbranch_execz .LBB20_69
.LBB20_66:
	s_mov_b32 s4, 0
	.p2align	6
.LBB20_67:                              ; =>This Inner Loop Header: Depth=1
	v_add_co_u32 v16, vcc_lo, v12, v14
	v_add_co_ci_u32_e64 v17, null, v13, v15, vcc_lo
	v_lshrrev_b64 v[16:17], 1, v[16:17]
	s_waitcnt vmcnt(1)
	v_lshlrev_b64 v[19:20], 2, v[16:17]
	v_add_co_u32 v19, vcc_lo, s2, v19
	v_add_co_ci_u32_e64 v20, null, s3, v20, vcc_lo
	global_load_dword v19, v[19:20], off
	v_add_co_u32 v20, vcc_lo, v16, 1
	v_add_co_ci_u32_e64 v21, null, 0, v17, vcc_lo
	s_waitcnt vmcnt(0)
	v_cmp_lt_i32_e32 vcc_lo, v19, v18
	v_cndmask_b32_e32 v13, v13, v21, vcc_lo
	v_cndmask_b32_e32 v12, v12, v20, vcc_lo
	;; [unrolled: 1-line block ×4, first 2 shown]
	v_cmp_ge_i64_e32 vcc_lo, v[12:13], v[14:15]
	s_or_b32 s4, vcc_lo, s4
	s_andn2_b32 exec_lo, exec_lo, s4
	s_cbranch_execnz .LBB20_67
; %bb.68:
	s_or_b32 exec_lo, exec_lo, s4
.LBB20_69:
	s_or_b32 exec_lo, exec_lo, s0
	v_sub_co_u32 v0, vcc_lo, v0, v6
	v_sub_co_ci_u32_e64 v1, null, v1, v7, vcc_lo
	v_sub_co_u32 v16, vcc_lo, v10, v12
	v_sub_co_ci_u32_e64 v17, null, v11, v13, vcc_lo
	s_mov_b32 s0, exec_lo
	v_add_co_u32 v14, vcc_lo, v16, v0
	v_add_co_ci_u32_e64 v15, null, v17, v1, vcc_lo
	v_ashrrev_i64 v[0:1], 1, v[14:15]
	v_cmp_gt_i64_e32 vcc_lo, v[0:1], v[16:17]
	v_cndmask_b32_e32 v0, v16, v0, vcc_lo
	v_cndmask_b32_e32 v1, v17, v1, vcc_lo
	v_add_co_u32 v12, vcc_lo, v12, v0
	v_add_co_ci_u32_e64 v13, null, v13, v1, vcc_lo
	v_add_co_u32 v12, vcc_lo, v12, 1
	v_add_co_ci_u32_e64 v13, null, 0, v13, vcc_lo
	v_cmp_gt_i64_e32 vcc_lo, s[10:11], v[12:13]
	v_cndmask_b32_e32 v12, s10, v12, vcc_lo
	v_cndmask_b32_e32 v13, s11, v13, vcc_lo
	v_sub_co_u32 v12, vcc_lo, v12, v10
	v_sub_co_ci_u32_e64 v13, null, v13, v11, vcc_lo
	v_mov_b32_e32 v10, 0
	v_mov_b32_e32 v11, 0
	v_cmpx_lt_i64_e32 0, v[12:13]
	s_cbranch_execz .LBB20_73
; %bb.70:
	v_mov_b32_e32 v10, 0
	v_mov_b32_e32 v11, 0
	s_mov_b32 s2, 0
	.p2align	6
.LBB20_71:                              ; =>This Inner Loop Header: Depth=1
	s_waitcnt vmcnt(1)
	v_add_co_u32 v19, vcc_lo, v10, v12
	v_add_co_ci_u32_e64 v20, null, v11, v13, vcc_lo
	v_lshrrev_b64 v[19:20], 1, v[19:20]
	v_lshlrev_b64 v[21:22], 2, v[19:20]
	v_add_co_u32 v21, vcc_lo, v8, v21
	v_add_co_ci_u32_e64 v22, null, v9, v22, vcc_lo
	global_load_dword v21, v[21:22], off
	v_add_co_u32 v22, vcc_lo, v19, 1
	v_add_co_ci_u32_e64 v23, null, 0, v20, vcc_lo
	s_waitcnt vmcnt(0)
	v_cmp_lt_i32_e32 vcc_lo, v18, v21
	v_cndmask_b32_e32 v11, v23, v11, vcc_lo
	v_cndmask_b32_e32 v10, v22, v10, vcc_lo
	;; [unrolled: 1-line block ×4, first 2 shown]
	v_cmp_ge_i64_e32 vcc_lo, v[10:11], v[12:13]
	s_or_b32 s2, vcc_lo, s2
	s_andn2_b32 exec_lo, exec_lo, s2
	s_cbranch_execnz .LBB20_71
; %bb.72:
	s_or_b32 exec_lo, exec_lo, s2
	v_ashrrev_i32_e32 v11, 31, v10
.LBB20_73:
	s_or_b32 exec_lo, exec_lo, s0
	v_add_co_u32 v8, vcc_lo, v10, v16
	v_add_co_ci_u32_e64 v9, null, v11, v17, vcc_lo
	s_mov_b32 s2, 0
	v_cmp_lt_i64_e32 vcc_lo, v[8:9], v[0:1]
	v_cndmask_b32_e32 v12, v0, v8, vcc_lo
	v_cndmask_b32_e32 v13, v1, v9, vcc_lo
	v_sub_co_u32 v10, vcc_lo, v14, v12
	v_sub_co_ci_u32_e64 v11, null, v15, v13, vcc_lo
	v_add_co_u32 v12, vcc_lo, v12, 1
	v_add_co_ci_u32_e64 v13, null, 0, v13, vcc_lo
	v_cmp_lt_i64_e32 vcc_lo, v[0:1], v[8:9]
	v_mov_b32_e32 v9, s2
	v_cmp_eq_u64_e64 s0, v[10:11], v[12:13]
	s_and_b32 s0, s0, vcc_lo
	v_add_co_u32 v0, vcc_lo, v10, v6
	v_cndmask_b32_e64 v8, 0, 1, s0
	v_add_co_ci_u32_e64 v1, null, v11, v7, vcc_lo
.LBB20_74:
	s_or_b32 exec_lo, exec_lo, s1
	v_lshlrev_b64 v[2:3], 4, v[2:3]
	v_add_co_u32 v6, vcc_lo, v8, v4
	v_add_co_ci_u32_e64 v7, null, v9, v5, vcc_lo
	v_add_co_u32 v4, vcc_lo, s12, v2
	v_add_co_ci_u32_e64 v5, null, s13, v3, vcc_lo
	v_sub_co_u32 v2, vcc_lo, v6, v0
	v_sub_co_ci_u32_e64 v3, null, v7, v1, vcc_lo
	global_store_dwordx4 v[4:5], v[0:3], off
	s_endpgm
	.section	.rodata,"a",@progbits
	.p2align	6, 0x0
	.amdhsa_kernel _ZN6thrust23THRUST_200600_302600_NS11hip_rocprim14__parallel_for6kernelILj256EZNS1_16__set_operations9doit_stepILb0ENS0_6detail15normal_iteratorINS0_10device_ptrIKiEEEESB_PiSC_lNS7_INS8_IiEEEESC_NS0_4lessIiEENS4_16serial_set_unionEEE10hipError_tPvRmT0_T1_T2_T3_T4_SP_T5_T6_PSP_T7_T8_P12ihipStream_tbEUllE_jLj1EEEvSL_SM_SM_
		.amdhsa_group_segment_fixed_size 0
		.amdhsa_private_segment_fixed_size 0
		.amdhsa_kernarg_size 56
		.amdhsa_user_sgpr_count 6
		.amdhsa_user_sgpr_private_segment_buffer 1
		.amdhsa_user_sgpr_dispatch_ptr 0
		.amdhsa_user_sgpr_queue_ptr 0
		.amdhsa_user_sgpr_kernarg_segment_ptr 1
		.amdhsa_user_sgpr_dispatch_id 0
		.amdhsa_user_sgpr_flat_scratch_init 0
		.amdhsa_user_sgpr_private_segment_size 0
		.amdhsa_wavefront_size32 1
		.amdhsa_uses_dynamic_stack 0
		.amdhsa_system_sgpr_private_segment_wavefront_offset 0
		.amdhsa_system_sgpr_workgroup_id_x 1
		.amdhsa_system_sgpr_workgroup_id_y 0
		.amdhsa_system_sgpr_workgroup_id_z 0
		.amdhsa_system_sgpr_workgroup_info 0
		.amdhsa_system_vgpr_workitem_id 0
		.amdhsa_next_free_vgpr 25
		.amdhsa_next_free_sgpr 16
		.amdhsa_reserve_vcc 1
		.amdhsa_reserve_flat_scratch 0
		.amdhsa_float_round_mode_32 0
		.amdhsa_float_round_mode_16_64 0
		.amdhsa_float_denorm_mode_32 3
		.amdhsa_float_denorm_mode_16_64 3
		.amdhsa_dx10_clamp 1
		.amdhsa_ieee_mode 1
		.amdhsa_fp16_overflow 0
		.amdhsa_workgroup_processor_mode 1
		.amdhsa_memory_ordered 1
		.amdhsa_forward_progress 1
		.amdhsa_shared_vgpr_count 0
		.amdhsa_exception_fp_ieee_invalid_op 0
		.amdhsa_exception_fp_denorm_src 0
		.amdhsa_exception_fp_ieee_div_zero 0
		.amdhsa_exception_fp_ieee_overflow 0
		.amdhsa_exception_fp_ieee_underflow 0
		.amdhsa_exception_fp_ieee_inexact 0
		.amdhsa_exception_int_div_zero 0
	.end_amdhsa_kernel
	.section	.text._ZN6thrust23THRUST_200600_302600_NS11hip_rocprim14__parallel_for6kernelILj256EZNS1_16__set_operations9doit_stepILb0ENS0_6detail15normal_iteratorINS0_10device_ptrIKiEEEESB_PiSC_lNS7_INS8_IiEEEESC_NS0_4lessIiEENS4_16serial_set_unionEEE10hipError_tPvRmT0_T1_T2_T3_T4_SP_T5_T6_PSP_T7_T8_P12ihipStream_tbEUllE_jLj1EEEvSL_SM_SM_,"axG",@progbits,_ZN6thrust23THRUST_200600_302600_NS11hip_rocprim14__parallel_for6kernelILj256EZNS1_16__set_operations9doit_stepILb0ENS0_6detail15normal_iteratorINS0_10device_ptrIKiEEEESB_PiSC_lNS7_INS8_IiEEEESC_NS0_4lessIiEENS4_16serial_set_unionEEE10hipError_tPvRmT0_T1_T2_T3_T4_SP_T5_T6_PSP_T7_T8_P12ihipStream_tbEUllE_jLj1EEEvSL_SM_SM_,comdat
.Lfunc_end20:
	.size	_ZN6thrust23THRUST_200600_302600_NS11hip_rocprim14__parallel_for6kernelILj256EZNS1_16__set_operations9doit_stepILb0ENS0_6detail15normal_iteratorINS0_10device_ptrIKiEEEESB_PiSC_lNS7_INS8_IiEEEESC_NS0_4lessIiEENS4_16serial_set_unionEEE10hipError_tPvRmT0_T1_T2_T3_T4_SP_T5_T6_PSP_T7_T8_P12ihipStream_tbEUllE_jLj1EEEvSL_SM_SM_, .Lfunc_end20-_ZN6thrust23THRUST_200600_302600_NS11hip_rocprim14__parallel_for6kernelILj256EZNS1_16__set_operations9doit_stepILb0ENS0_6detail15normal_iteratorINS0_10device_ptrIKiEEEESB_PiSC_lNS7_INS8_IiEEEESC_NS0_4lessIiEENS4_16serial_set_unionEEE10hipError_tPvRmT0_T1_T2_T3_T4_SP_T5_T6_PSP_T7_T8_P12ihipStream_tbEUllE_jLj1EEEvSL_SM_SM_
                                        ; -- End function
	.set _ZN6thrust23THRUST_200600_302600_NS11hip_rocprim14__parallel_for6kernelILj256EZNS1_16__set_operations9doit_stepILb0ENS0_6detail15normal_iteratorINS0_10device_ptrIKiEEEESB_PiSC_lNS7_INS8_IiEEEESC_NS0_4lessIiEENS4_16serial_set_unionEEE10hipError_tPvRmT0_T1_T2_T3_T4_SP_T5_T6_PSP_T7_T8_P12ihipStream_tbEUllE_jLj1EEEvSL_SM_SM_.num_vgpr, 25
	.set _ZN6thrust23THRUST_200600_302600_NS11hip_rocprim14__parallel_for6kernelILj256EZNS1_16__set_operations9doit_stepILb0ENS0_6detail15normal_iteratorINS0_10device_ptrIKiEEEESB_PiSC_lNS7_INS8_IiEEEESC_NS0_4lessIiEENS4_16serial_set_unionEEE10hipError_tPvRmT0_T1_T2_T3_T4_SP_T5_T6_PSP_T7_T8_P12ihipStream_tbEUllE_jLj1EEEvSL_SM_SM_.num_agpr, 0
	.set _ZN6thrust23THRUST_200600_302600_NS11hip_rocprim14__parallel_for6kernelILj256EZNS1_16__set_operations9doit_stepILb0ENS0_6detail15normal_iteratorINS0_10device_ptrIKiEEEESB_PiSC_lNS7_INS8_IiEEEESC_NS0_4lessIiEENS4_16serial_set_unionEEE10hipError_tPvRmT0_T1_T2_T3_T4_SP_T5_T6_PSP_T7_T8_P12ihipStream_tbEUllE_jLj1EEEvSL_SM_SM_.numbered_sgpr, 16
	.set _ZN6thrust23THRUST_200600_302600_NS11hip_rocprim14__parallel_for6kernelILj256EZNS1_16__set_operations9doit_stepILb0ENS0_6detail15normal_iteratorINS0_10device_ptrIKiEEEESB_PiSC_lNS7_INS8_IiEEEESC_NS0_4lessIiEENS4_16serial_set_unionEEE10hipError_tPvRmT0_T1_T2_T3_T4_SP_T5_T6_PSP_T7_T8_P12ihipStream_tbEUllE_jLj1EEEvSL_SM_SM_.num_named_barrier, 0
	.set _ZN6thrust23THRUST_200600_302600_NS11hip_rocprim14__parallel_for6kernelILj256EZNS1_16__set_operations9doit_stepILb0ENS0_6detail15normal_iteratorINS0_10device_ptrIKiEEEESB_PiSC_lNS7_INS8_IiEEEESC_NS0_4lessIiEENS4_16serial_set_unionEEE10hipError_tPvRmT0_T1_T2_T3_T4_SP_T5_T6_PSP_T7_T8_P12ihipStream_tbEUllE_jLj1EEEvSL_SM_SM_.private_seg_size, 0
	.set _ZN6thrust23THRUST_200600_302600_NS11hip_rocprim14__parallel_for6kernelILj256EZNS1_16__set_operations9doit_stepILb0ENS0_6detail15normal_iteratorINS0_10device_ptrIKiEEEESB_PiSC_lNS7_INS8_IiEEEESC_NS0_4lessIiEENS4_16serial_set_unionEEE10hipError_tPvRmT0_T1_T2_T3_T4_SP_T5_T6_PSP_T7_T8_P12ihipStream_tbEUllE_jLj1EEEvSL_SM_SM_.uses_vcc, 1
	.set _ZN6thrust23THRUST_200600_302600_NS11hip_rocprim14__parallel_for6kernelILj256EZNS1_16__set_operations9doit_stepILb0ENS0_6detail15normal_iteratorINS0_10device_ptrIKiEEEESB_PiSC_lNS7_INS8_IiEEEESC_NS0_4lessIiEENS4_16serial_set_unionEEE10hipError_tPvRmT0_T1_T2_T3_T4_SP_T5_T6_PSP_T7_T8_P12ihipStream_tbEUllE_jLj1EEEvSL_SM_SM_.uses_flat_scratch, 0
	.set _ZN6thrust23THRUST_200600_302600_NS11hip_rocprim14__parallel_for6kernelILj256EZNS1_16__set_operations9doit_stepILb0ENS0_6detail15normal_iteratorINS0_10device_ptrIKiEEEESB_PiSC_lNS7_INS8_IiEEEESC_NS0_4lessIiEENS4_16serial_set_unionEEE10hipError_tPvRmT0_T1_T2_T3_T4_SP_T5_T6_PSP_T7_T8_P12ihipStream_tbEUllE_jLj1EEEvSL_SM_SM_.has_dyn_sized_stack, 0
	.set _ZN6thrust23THRUST_200600_302600_NS11hip_rocprim14__parallel_for6kernelILj256EZNS1_16__set_operations9doit_stepILb0ENS0_6detail15normal_iteratorINS0_10device_ptrIKiEEEESB_PiSC_lNS7_INS8_IiEEEESC_NS0_4lessIiEENS4_16serial_set_unionEEE10hipError_tPvRmT0_T1_T2_T3_T4_SP_T5_T6_PSP_T7_T8_P12ihipStream_tbEUllE_jLj1EEEvSL_SM_SM_.has_recursion, 0
	.set _ZN6thrust23THRUST_200600_302600_NS11hip_rocprim14__parallel_for6kernelILj256EZNS1_16__set_operations9doit_stepILb0ENS0_6detail15normal_iteratorINS0_10device_ptrIKiEEEESB_PiSC_lNS7_INS8_IiEEEESC_NS0_4lessIiEENS4_16serial_set_unionEEE10hipError_tPvRmT0_T1_T2_T3_T4_SP_T5_T6_PSP_T7_T8_P12ihipStream_tbEUllE_jLj1EEEvSL_SM_SM_.has_indirect_call, 0
	.section	.AMDGPU.csdata,"",@progbits
; Kernel info:
; codeLenInByte = 4980
; TotalNumSgprs: 18
; NumVgprs: 25
; ScratchSize: 0
; MemoryBound: 0
; FloatMode: 240
; IeeeMode: 1
; LDSByteSize: 0 bytes/workgroup (compile time only)
; SGPRBlocks: 0
; VGPRBlocks: 3
; NumSGPRsForWavesPerEU: 18
; NumVGPRsForWavesPerEU: 25
; Occupancy: 16
; WaveLimiterHint : 0
; COMPUTE_PGM_RSRC2:SCRATCH_EN: 0
; COMPUTE_PGM_RSRC2:USER_SGPR: 6
; COMPUTE_PGM_RSRC2:TRAP_HANDLER: 0
; COMPUTE_PGM_RSRC2:TGID_X_EN: 1
; COMPUTE_PGM_RSRC2:TGID_Y_EN: 0
; COMPUTE_PGM_RSRC2:TGID_Z_EN: 0
; COMPUTE_PGM_RSRC2:TIDIG_COMP_CNT: 0
	.section	.text._ZN6thrust23THRUST_200600_302600_NS11hip_rocprim16__set_operations22lookback_set_op_kernelIN7rocprim17ROCPRIM_400000_NS13kernel_configILj256ELj16ELj4294967295EEELb0ENS0_6detail15normal_iteratorINS0_10device_ptrIKiEEEESD_PiSE_lNS9_INSA_IiEEEESE_NS0_4lessIiEENS2_16serial_set_unionENS5_6detail19lookback_scan_stateIlLb0ELb1EEEEEvT1_T2_T3_T4_T6_T7_T8_T9_PNS0_4pairIT5_SW_EEPSW_T10_NSK_16ordered_block_idIjEE,"axG",@progbits,_ZN6thrust23THRUST_200600_302600_NS11hip_rocprim16__set_operations22lookback_set_op_kernelIN7rocprim17ROCPRIM_400000_NS13kernel_configILj256ELj16ELj4294967295EEELb0ENS0_6detail15normal_iteratorINS0_10device_ptrIKiEEEESD_PiSE_lNS9_INSA_IiEEEESE_NS0_4lessIiEENS2_16serial_set_unionENS5_6detail19lookback_scan_stateIlLb0ELb1EEEEEvT1_T2_T3_T4_T6_T7_T8_T9_PNS0_4pairIT5_SW_EEPSW_T10_NSK_16ordered_block_idIjEE,comdat
	.protected	_ZN6thrust23THRUST_200600_302600_NS11hip_rocprim16__set_operations22lookback_set_op_kernelIN7rocprim17ROCPRIM_400000_NS13kernel_configILj256ELj16ELj4294967295EEELb0ENS0_6detail15normal_iteratorINS0_10device_ptrIKiEEEESD_PiSE_lNS9_INSA_IiEEEESE_NS0_4lessIiEENS2_16serial_set_unionENS5_6detail19lookback_scan_stateIlLb0ELb1EEEEEvT1_T2_T3_T4_T6_T7_T8_T9_PNS0_4pairIT5_SW_EEPSW_T10_NSK_16ordered_block_idIjEE ; -- Begin function _ZN6thrust23THRUST_200600_302600_NS11hip_rocprim16__set_operations22lookback_set_op_kernelIN7rocprim17ROCPRIM_400000_NS13kernel_configILj256ELj16ELj4294967295EEELb0ENS0_6detail15normal_iteratorINS0_10device_ptrIKiEEEESD_PiSE_lNS9_INSA_IiEEEESE_NS0_4lessIiEENS2_16serial_set_unionENS5_6detail19lookback_scan_stateIlLb0ELb1EEEEEvT1_T2_T3_T4_T6_T7_T8_T9_PNS0_4pairIT5_SW_EEPSW_T10_NSK_16ordered_block_idIjEE
	.globl	_ZN6thrust23THRUST_200600_302600_NS11hip_rocprim16__set_operations22lookback_set_op_kernelIN7rocprim17ROCPRIM_400000_NS13kernel_configILj256ELj16ELj4294967295EEELb0ENS0_6detail15normal_iteratorINS0_10device_ptrIKiEEEESD_PiSE_lNS9_INSA_IiEEEESE_NS0_4lessIiEENS2_16serial_set_unionENS5_6detail19lookback_scan_stateIlLb0ELb1EEEEEvT1_T2_T3_T4_T6_T7_T8_T9_PNS0_4pairIT5_SW_EEPSW_T10_NSK_16ordered_block_idIjEE
	.p2align	8
	.type	_ZN6thrust23THRUST_200600_302600_NS11hip_rocprim16__set_operations22lookback_set_op_kernelIN7rocprim17ROCPRIM_400000_NS13kernel_configILj256ELj16ELj4294967295EEELb0ENS0_6detail15normal_iteratorINS0_10device_ptrIKiEEEESD_PiSE_lNS9_INSA_IiEEEESE_NS0_4lessIiEENS2_16serial_set_unionENS5_6detail19lookback_scan_stateIlLb0ELb1EEEEEvT1_T2_T3_T4_T6_T7_T8_T9_PNS0_4pairIT5_SW_EEPSW_T10_NSK_16ordered_block_idIjEE,@function
_ZN6thrust23THRUST_200600_302600_NS11hip_rocprim16__set_operations22lookback_set_op_kernelIN7rocprim17ROCPRIM_400000_NS13kernel_configILj256ELj16ELj4294967295EEELb0ENS0_6detail15normal_iteratorINS0_10device_ptrIKiEEEESD_PiSE_lNS9_INSA_IiEEEESE_NS0_4lessIiEENS2_16serial_set_unionENS5_6detail19lookback_scan_stateIlLb0ELb1EEEEEvT1_T2_T3_T4_T6_T7_T8_T9_PNS0_4pairIT5_SW_EEPSW_T10_NSK_16ordered_block_idIjEE: ; @_ZN6thrust23THRUST_200600_302600_NS11hip_rocprim16__set_operations22lookback_set_op_kernelIN7rocprim17ROCPRIM_400000_NS13kernel_configILj256ELj16ELj4294967295EEELb0ENS0_6detail15normal_iteratorINS0_10device_ptrIKiEEEESD_PiSE_lNS9_INSA_IiEEEESE_NS0_4lessIiEENS2_16serial_set_unionENS5_6detail19lookback_scan_stateIlLb0ELb1EEEEEvT1_T2_T3_T4_T6_T7_T8_T9_PNS0_4pairIT5_SW_EEPSW_T10_NSK_16ordered_block_idIjEE
; %bb.0:
	s_clause 0x2
	s_load_dword s1, s[4:5], 0x64
	s_load_dword s0, s[4:5], 0x58
	s_load_dwordx8 s[24:31], s[4:5], 0x38
	s_waitcnt lgkmcnt(0)
	s_lshr_b32 s2, s1, 16
	s_and_b32 s1, s1, 0xffff
	v_mad_u32_u24 v1, v2, s2, v1
	v_sub_nc_u32_e32 v2, 0, v0
	v_mul_lo_u32 v1, v1, s1
	s_mov_b32 s1, exec_lo
	v_cmpx_eq_u32_e64 v1, v2
	s_cbranch_execz .LBB21_4
; %bb.1:
	s_mov_b32 s3, exec_lo
	s_mov_b32 s2, exec_lo
	v_mbcnt_lo_u32_b32 v1, s3, 0
                                        ; implicit-def: $vgpr2
	v_cmpx_eq_u32_e32 0, v1
	s_cbranch_execz .LBB21_3
; %bb.2:
	s_bcnt1_i32_b32 s3, s3
	v_mov_b32_e32 v2, 0
	v_mov_b32_e32 v3, s3
	global_atomic_add v2, v2, v3, s[30:31] glc
.LBB21_3:
	s_or_b32 exec_lo, exec_lo, s2
	s_waitcnt vmcnt(0)
	v_readfirstlane_b32 s2, v2
	v_mov_b32_e32 v2, 0
	v_add_nc_u32_e32 v1, s2, v1
	ds_write_b32 v2, v1 offset:36864
.LBB21_4:
	s_or_b32 exec_lo, exec_lo, s1
	v_mov_b32_e32 v1, 0
	s_waitcnt lgkmcnt(0)
	s_barrier
	buffer_gl0_inv
	s_add_i32 s6, s0, -1
	ds_read_b32 v10, v1 offset:36864
	s_waitcnt lgkmcnt(0)
	v_readfirstlane_b32 s30, v10
	v_cmp_le_i32_e32 vcc_lo, s6, v10
	s_ashr_i32 s31, s30, 31
	s_lshl_b64 s[2:3], s[30:31], 4
	s_add_u32 s0, s24, s2
	s_addc_u32 s1, s25, s3
	s_and_b32 vcc_lo, exec_lo, vcc_lo
	s_clause 0x1
	global_load_dwordx4 v[2:5], v1, s[0:1]
	global_load_dwordx4 v[6:9], v1, s[0:1] offset:16
	s_clause 0x1
	s_load_dwordx4 s[0:3], s[4:5], 0x0
	s_load_dwordx2 s[24:25], s[4:5], 0x20
	s_waitcnt vmcnt(1)
	v_readfirstlane_b32 s7, v2
	s_waitcnt vmcnt(0)
	v_sub_nc_u32_e32 v17, v8, v4
	v_lshlrev_b64 v[4:5], 2, v[4:5]
	v_readfirstlane_b32 s4, v6
	v_mov_b32_e32 v2, s7
	s_sub_i32 s31, s4, s7
	v_lshlrev_b64 v[2:3], 2, v[2:3]
	s_waitcnt lgkmcnt(0)
	v_add_co_u32 v20, s0, s0, v2
	v_add_co_ci_u32_e64 v21, null, s1, v3, s0
	v_add_co_u32 v18, s0, s2, v4
	v_add_co_ci_u32_e64 v19, null, s3, v5, s0
	s_mov_b32 s0, -1
	s_cbranch_vccz .LBB21_251
; %bb.5:
	v_add_nc_u32_e32 v3, s31, v17
	v_mov_b32_e32 v2, v1
	v_mov_b32_e32 v4, v1
	;; [unrolled: 1-line block ×15, first 2 shown]
	s_mov_b32 s0, exec_lo
	v_cmpx_lt_i32_e64 v0, v3
	s_cbranch_execz .LBB21_7
; %bb.6:
	v_mov_b32_e32 v2, 0
	v_subrev_nc_u32_e32 v1, s31, v0
	v_lshlrev_b32_e32 v6, 2, v0
	v_mov_b32_e32 v7, v2
	v_lshlrev_b64 v[4:5], 2, v[1:2]
	v_add_co_u32 v1, vcc_lo, v20, v6
	v_add_co_ci_u32_e64 v6, null, 0, v21, vcc_lo
	v_mov_b32_e32 v8, v2
	v_add_co_u32 v4, vcc_lo, v18, v4
	v_add_co_ci_u32_e64 v5, null, v19, v5, vcc_lo
	v_cmp_gt_i32_e32 vcc_lo, s31, v0
	v_mov_b32_e32 v9, v2
	v_mov_b32_e32 v10, v2
	;; [unrolled: 1-line block ×4, first 2 shown]
	v_cndmask_b32_e32 v5, v5, v6, vcc_lo
	v_cndmask_b32_e32 v4, v4, v1, vcc_lo
	v_mov_b32_e32 v6, v2
	v_mov_b32_e32 v14, v2
	;; [unrolled: 1-line block ×4, first 2 shown]
	global_load_dword v1, v[4:5], off
	v_mov_b32_e32 v4, v2
	v_mov_b32_e32 v5, v2
	v_mov_b32_e32 v16, v2
	v_mov_b32_e32 v23, v2
.LBB21_7:
	s_or_b32 exec_lo, exec_lo, s0
	v_or_b32_e32 v22, 0x100, v0
	s_mov_b32 s0, exec_lo
	v_cmpx_lt_i32_e64 v22, v3
	s_cbranch_execz .LBB21_9
; %bb.8:
	v_lshlrev_b32_e32 v2, 2, v0
	v_mov_b32_e32 v25, 0
	v_subrev_nc_u32_e32 v24, s31, v22
	v_add_co_u32 v2, vcc_lo, v20, v2
	v_lshlrev_b64 v[24:25], 2, v[24:25]
	v_add_co_ci_u32_e64 v26, null, 0, v21, vcc_lo
	v_add_co_u32 v2, vcc_lo, 0x400, v2
	v_add_co_ci_u32_e64 v26, null, 0, v26, vcc_lo
	v_add_co_u32 v24, vcc_lo, v18, v24
	v_add_co_ci_u32_e64 v25, null, v19, v25, vcc_lo
	v_cmp_gt_i32_e32 vcc_lo, s31, v22
	v_cndmask_b32_e32 v25, v25, v26, vcc_lo
	v_cndmask_b32_e32 v24, v24, v2, vcc_lo
	global_load_dword v2, v[24:25], off
.LBB21_9:
	s_or_b32 exec_lo, exec_lo, s0
	v_or_b32_e32 v22, 0x200, v0
	s_mov_b32 s0, exec_lo
	v_cmpx_lt_i32_e64 v22, v3
	s_cbranch_execz .LBB21_11
; %bb.10:
	v_mov_b32_e32 v25, 0
	v_subrev_nc_u32_e32 v24, s31, v22
	v_lshlrev_b32_e32 v4, 2, v22
	v_lshlrev_b64 v[24:25], 2, v[24:25]
	v_add_co_u32 v4, vcc_lo, v20, v4
	v_add_co_ci_u32_e64 v26, null, 0, v21, vcc_lo
	v_add_co_u32 v24, vcc_lo, v18, v24
	v_add_co_ci_u32_e64 v25, null, v19, v25, vcc_lo
	v_cmp_gt_i32_e32 vcc_lo, s31, v22
	v_cndmask_b32_e32 v25, v25, v26, vcc_lo
	v_cndmask_b32_e32 v24, v24, v4, vcc_lo
	global_load_dword v4, v[24:25], off
.LBB21_11:
	s_or_b32 exec_lo, exec_lo, s0
	v_or_b32_e32 v22, 0x300, v0
	s_mov_b32 s0, exec_lo
	v_cmpx_lt_i32_e64 v22, v3
	s_cbranch_execz .LBB21_13
; %bb.12:
	v_mov_b32_e32 v25, 0
	v_subrev_nc_u32_e32 v24, s31, v22
	v_lshlrev_b32_e32 v6, 2, v22
	v_lshlrev_b64 v[24:25], 2, v[24:25]
	v_add_co_u32 v6, vcc_lo, v20, v6
	v_add_co_ci_u32_e64 v26, null, 0, v21, vcc_lo
	v_add_co_u32 v24, vcc_lo, v18, v24
	v_add_co_ci_u32_e64 v25, null, v19, v25, vcc_lo
	v_cmp_gt_i32_e32 vcc_lo, s31, v22
	v_cndmask_b32_e32 v25, v25, v26, vcc_lo
	v_cndmask_b32_e32 v24, v24, v6, vcc_lo
	global_load_dword v6, v[24:25], off
.LBB21_13:
	;; [unrolled: 19-line block ×14, first 2 shown]
	s_or_b32 exec_lo, exec_lo, s0
	v_lshlrev_b32_e32 v24, 4, v0
	v_lshlrev_b32_e32 v22, 2, v0
	s_lshl_b32 s0, s31, 2
	s_mov_b32 s2, 0
	s_addk_i32 s0, 0x4800
	v_min_i32_e32 v3, v3, v24
	s_waitcnt vmcnt(0)
	ds_write2st64_b32 v22, v1, v2 offset0:76 offset1:80
	ds_write2st64_b32 v22, v4, v6 offset0:84 offset1:88
	s_mov_b32 s1, exec_lo
	ds_write2st64_b32 v22, v5, v7 offset0:92 offset1:96
	ds_write2st64_b32 v22, v8, v9 offset0:100 offset1:104
	;; [unrolled: 1-line block ×6, first 2 shown]
	v_sub_nc_u32_e32 v1, v3, v17
	v_min_i32_e32 v2, s31, v3
	s_waitcnt lgkmcnt(0)
	s_barrier
	buffer_gl0_inv
	v_max_i32_e32 v1, 0, v1
	v_cmpx_lt_i32_e64 v1, v2
	s_cbranch_execz .LBB21_41
; %bb.38:
	v_lshlrev_b32_e32 v4, 2, v3
	v_add3_u32 v4, s0, v4, 0x400
	.p2align	6
.LBB21_39:                              ; =>This Inner Loop Header: Depth=1
	v_add_nc_u32_e32 v5, v2, v1
	v_lshrrev_b32_e32 v5, 1, v5
	v_not_b32_e32 v6, v5
	v_lshlrev_b32_e32 v7, 2, v5
	v_add_nc_u32_e32 v8, 1, v5
	v_lshl_add_u32 v6, v6, 2, v4
	ds_read_b32 v7, v7 offset:19456
	ds_read_b32 v6, v6
	s_waitcnt lgkmcnt(0)
	v_cmp_lt_i32_e32 vcc_lo, v6, v7
	v_cndmask_b32_e32 v2, v2, v5, vcc_lo
	v_cndmask_b32_e32 v1, v8, v1, vcc_lo
	v_cmp_ge_i32_e32 vcc_lo, v1, v2
	s_or_b32 s2, vcc_lo, s2
	s_andn2_b32 exec_lo, exec_lo, s2
	s_cbranch_execnz .LBB21_39
; %bb.40:
	s_or_b32 exec_lo, exec_lo, s2
.LBB21_41:
	s_or_b32 exec_lo, exec_lo, s1
	v_or_b32_e32 v4, 0x4800, v22
	v_sub_nc_u32_e32 v7, v3, v1
	v_mov_b32_e32 v5, 0
	s_mov_b32 s1, exec_lo
	v_cmpx_lt_i32_e64 v7, v17
	s_cbranch_execz .LBB21_71
; %bb.42:
	v_lshl_add_u32 v5, v7, 2, s0
	v_mov_b32_e32 v2, 0
	v_mov_b32_e32 v8, 0
	s_mov_b32 s2, exec_lo
	ds_read_b32 v6, v5 offset:1024
	v_cmpx_lt_i32_e32 0, v1
	s_cbranch_execnz .LBB21_47
; %bb.43:
	s_or_b32 exec_lo, exec_lo, s2
	s_mov_b32 s2, exec_lo
	v_cmpx_lt_i32_e64 v2, v8
	s_cbranch_execnz .LBB21_48
.LBB21_44:
	s_or_b32 exec_lo, exec_lo, s2
	s_mov_b32 s2, exec_lo
	v_cmpx_lt_i32_e64 v2, v8
	s_cbranch_execnz .LBB21_49
.LBB21_45:
	s_or_b32 exec_lo, exec_lo, s2
	s_mov_b32 s2, exec_lo
	v_cmpx_lt_i32_e64 v2, v8
	s_cbranch_execnz .LBB21_50
.LBB21_46:
	s_or_b32 exec_lo, exec_lo, s2
	s_mov_b32 s2, exec_lo
	v_cmpx_lt_i32_e64 v2, v8
	s_cbranch_execnz .LBB21_51
	s_branch .LBB21_54
.LBB21_47:
	v_mul_lo_u32 v2, 0x1ff, v1
	v_ashrrev_i32_e32 v8, 9, v2
	v_lshlrev_b32_e32 v2, 2, v8
	v_add_nc_u32_e32 v9, 1, v8
	ds_read_b32 v2, v2 offset:19456
	s_waitcnt lgkmcnt(0)
	v_cmp_lt_i32_e32 vcc_lo, v2, v6
	v_cndmask_b32_e32 v2, 0, v9, vcc_lo
	v_cndmask_b32_e32 v8, v8, v1, vcc_lo
	s_or_b32 exec_lo, exec_lo, s2
	s_mov_b32 s2, exec_lo
	v_cmpx_lt_i32_e64 v2, v8
	s_cbranch_execz .LBB21_44
.LBB21_48:
	v_sub_nc_u32_e32 v9, v2, v8
	v_lshl_add_u32 v9, v8, 7, v9
	v_ashrrev_i32_e32 v9, 7, v9
	v_lshlrev_b32_e32 v10, 2, v9
	v_add_nc_u32_e32 v11, 1, v9
	ds_read_b32 v10, v10 offset:19456
	s_waitcnt lgkmcnt(0)
	v_cmp_lt_i32_e32 vcc_lo, v10, v6
	v_cndmask_b32_e32 v2, v2, v11, vcc_lo
	v_cndmask_b32_e32 v8, v9, v8, vcc_lo
	s_or_b32 exec_lo, exec_lo, s2
	s_mov_b32 s2, exec_lo
	v_cmpx_lt_i32_e64 v2, v8
	s_cbranch_execz .LBB21_45
.LBB21_49:
	v_sub_nc_u32_e32 v9, v2, v8
	v_lshl_add_u32 v9, v8, 5, v9
	v_ashrrev_i32_e32 v9, 5, v9
	v_lshlrev_b32_e32 v10, 2, v9
	v_add_nc_u32_e32 v11, 1, v9
	ds_read_b32 v10, v10 offset:19456
	s_waitcnt lgkmcnt(0)
	v_cmp_lt_i32_e32 vcc_lo, v10, v6
	v_cndmask_b32_e32 v2, v2, v11, vcc_lo
	v_cndmask_b32_e32 v8, v9, v8, vcc_lo
	s_or_b32 exec_lo, exec_lo, s2
	s_mov_b32 s2, exec_lo
	v_cmpx_lt_i32_e64 v2, v8
	s_cbranch_execz .LBB21_46
.LBB21_50:
	v_sub_nc_u32_e32 v9, v2, v8
	v_lshl_add_u32 v9, v8, 4, v9
	v_ashrrev_i32_e32 v9, 4, v9
	v_lshlrev_b32_e32 v10, 2, v9
	v_add_nc_u32_e32 v11, 1, v9
	ds_read_b32 v10, v10 offset:19456
	s_waitcnt lgkmcnt(0)
	v_cmp_lt_i32_e32 vcc_lo, v10, v6
	v_cndmask_b32_e32 v2, v2, v11, vcc_lo
	v_cndmask_b32_e32 v8, v9, v8, vcc_lo
	s_or_b32 exec_lo, exec_lo, s2
	s_mov_b32 s2, exec_lo
	v_cmpx_lt_i32_e64 v2, v8
	s_cbranch_execz .LBB21_54
.LBB21_51:
	s_mov_b32 s3, 0
.LBB21_52:                              ; =>This Inner Loop Header: Depth=1
	v_sub_nc_u32_e32 v9, v2, v8
	v_lshl_add_u32 v9, v8, 1, v9
	v_ashrrev_i32_e32 v9, 1, v9
	v_lshlrev_b32_e32 v10, 2, v9
	v_add_nc_u32_e32 v11, 1, v9
	ds_read_b32 v10, v10 offset:19456
	s_waitcnt lgkmcnt(0)
	v_cmp_lt_i32_e32 vcc_lo, v10, v6
	v_cndmask_b32_e32 v2, v2, v11, vcc_lo
	v_cndmask_b32_e32 v8, v9, v8, vcc_lo
	v_cmp_ge_i32_e32 vcc_lo, v2, v8
	s_or_b32 s3, vcc_lo, s3
	s_andn2_b32 exec_lo, exec_lo, s3
	s_cbranch_execnz .LBB21_52
; %bb.53:
	s_or_b32 exec_lo, exec_lo, s3
.LBB21_54:
	s_or_b32 exec_lo, exec_lo, s2
	v_mov_b32_e32 v8, 0
	v_mov_b32_e32 v9, v7
	s_mov_b32 s2, exec_lo
	v_cmpx_lt_i32_e32 0, v7
	s_cbranch_execnz .LBB21_59
; %bb.55:
	s_or_b32 exec_lo, exec_lo, s2
	s_mov_b32 s2, exec_lo
	v_cmpx_lt_i32_e64 v8, v9
	s_cbranch_execnz .LBB21_60
.LBB21_56:
	s_or_b32 exec_lo, exec_lo, s2
	s_mov_b32 s2, exec_lo
	v_cmpx_lt_i32_e64 v8, v9
	s_cbranch_execnz .LBB21_61
.LBB21_57:
	s_or_b32 exec_lo, exec_lo, s2
	s_mov_b32 s2, exec_lo
	v_cmpx_lt_i32_e64 v8, v9
	s_cbranch_execnz .LBB21_62
.LBB21_58:
	s_or_b32 exec_lo, exec_lo, s2
	s_mov_b32 s2, exec_lo
	v_cmpx_lt_i32_e64 v8, v9
	s_cbranch_execnz .LBB21_63
	s_branch .LBB21_66
.LBB21_59:
	v_mul_lo_u32 v8, 0x1ff, v7
	v_lshrrev_b32_e32 v9, 9, v8
	v_lshl_add_u32 v8, v9, 2, s0
	v_add_nc_u32_e32 v10, 1, v9
	ds_read_b32 v8, v8 offset:1024
	s_waitcnt lgkmcnt(0)
	v_cmp_lt_i32_e32 vcc_lo, v8, v6
	v_cndmask_b32_e32 v8, 0, v10, vcc_lo
	v_cndmask_b32_e32 v9, v9, v7, vcc_lo
	s_or_b32 exec_lo, exec_lo, s2
	s_mov_b32 s2, exec_lo
	v_cmpx_lt_i32_e64 v8, v9
	s_cbranch_execz .LBB21_56
.LBB21_60:
	v_sub_nc_u32_e32 v10, v8, v9
	v_lshl_add_u32 v10, v9, 7, v10
	v_ashrrev_i32_e32 v10, 7, v10
	v_lshl_add_u32 v11, v10, 2, s0
	v_add_nc_u32_e32 v12, 1, v10
	ds_read_b32 v11, v11 offset:1024
	s_waitcnt lgkmcnt(0)
	v_cmp_lt_i32_e32 vcc_lo, v11, v6
	v_cndmask_b32_e32 v8, v8, v12, vcc_lo
	v_cndmask_b32_e32 v9, v10, v9, vcc_lo
	s_or_b32 exec_lo, exec_lo, s2
	s_mov_b32 s2, exec_lo
	v_cmpx_lt_i32_e64 v8, v9
	s_cbranch_execz .LBB21_57
.LBB21_61:
	v_sub_nc_u32_e32 v10, v8, v9
	v_lshl_add_u32 v10, v9, 5, v10
	v_ashrrev_i32_e32 v10, 5, v10
	v_lshl_add_u32 v11, v10, 2, s0
	v_add_nc_u32_e32 v12, 1, v10
	ds_read_b32 v11, v11 offset:1024
	s_waitcnt lgkmcnt(0)
	v_cmp_lt_i32_e32 vcc_lo, v11, v6
	v_cndmask_b32_e32 v8, v8, v12, vcc_lo
	v_cndmask_b32_e32 v9, v10, v9, vcc_lo
	s_or_b32 exec_lo, exec_lo, s2
	s_mov_b32 s2, exec_lo
	v_cmpx_lt_i32_e64 v8, v9
	s_cbranch_execz .LBB21_58
.LBB21_62:
	v_sub_nc_u32_e32 v10, v8, v9
	v_lshl_add_u32 v10, v9, 4, v10
	v_ashrrev_i32_e32 v10, 4, v10
	v_lshl_add_u32 v11, v10, 2, s0
	v_add_nc_u32_e32 v12, 1, v10
	ds_read_b32 v11, v11 offset:1024
	s_waitcnt lgkmcnt(0)
	v_cmp_lt_i32_e32 vcc_lo, v11, v6
	v_cndmask_b32_e32 v8, v8, v12, vcc_lo
	v_cndmask_b32_e32 v9, v10, v9, vcc_lo
	s_or_b32 exec_lo, exec_lo, s2
	s_mov_b32 s2, exec_lo
	v_cmpx_lt_i32_e64 v8, v9
	s_cbranch_execz .LBB21_66
.LBB21_63:
	s_mov_b32 s3, 0
.LBB21_64:                              ; =>This Inner Loop Header: Depth=1
	v_sub_nc_u32_e32 v10, v8, v9
	v_lshl_add_u32 v10, v9, 1, v10
	v_ashrrev_i32_e32 v10, 1, v10
	v_lshl_add_u32 v11, v10, 2, s0
	v_add_nc_u32_e32 v12, 1, v10
	ds_read_b32 v11, v11 offset:1024
	s_waitcnt lgkmcnt(0)
	v_cmp_lt_i32_e32 vcc_lo, v11, v6
	v_cndmask_b32_e32 v8, v8, v12, vcc_lo
	v_cndmask_b32_e32 v9, v10, v9, vcc_lo
	v_cmp_ge_i32_e32 vcc_lo, v8, v9
	s_or_b32 s3, vcc_lo, s3
	s_andn2_b32 exec_lo, exec_lo, s3
	s_cbranch_execnz .LBB21_64
; %bb.65:
	s_or_b32 exec_lo, exec_lo, s3
.LBB21_66:
	s_or_b32 exec_lo, exec_lo, s2
	v_sub_nc_u32_e32 v1, v1, v2
	v_sub_nc_u32_e32 v10, v7, v8
	s_mov_b32 s0, exec_lo
	v_add_nc_u32_e32 v9, v10, v1
	v_ashrrev_i32_e32 v1, 1, v9
	v_max_i32_e32 v1, v1, v10
	v_add3_u32 v8, v8, v1, 1
	v_min_i32_e32 v8, v8, v17
	v_sub_nc_u32_e32 v8, v8, v7
	v_mov_b32_e32 v7, 0
	v_cmpx_lt_i32_e32 0, v8
	s_cbranch_execz .LBB21_70
; %bb.67:
	v_mov_b32_e32 v7, 0
	s_mov_b32 s2, 0
.LBB21_68:                              ; =>This Inner Loop Header: Depth=1
	v_add_nc_u32_e32 v11, v7, v8
	v_lshrrev_b32_e32 v11, 1, v11
	v_lshl_add_u32 v12, v11, 2, v5
	v_add_nc_u32_e32 v13, 1, v11
	ds_read_b32 v12, v12 offset:1024
	s_waitcnt lgkmcnt(0)
	v_cmp_lt_i32_e32 vcc_lo, v6, v12
	v_cndmask_b32_e32 v7, v13, v7, vcc_lo
	v_cndmask_b32_e32 v8, v8, v11, vcc_lo
	v_cmp_ge_i32_e32 vcc_lo, v7, v8
	s_or_b32 s2, vcc_lo, s2
	s_andn2_b32 exec_lo, exec_lo, s2
	s_cbranch_execnz .LBB21_68
; %bb.69:
	s_or_b32 exec_lo, exec_lo, s2
.LBB21_70:
	s_or_b32 exec_lo, exec_lo, s0
	v_add_nc_u32_e32 v5, v7, v10
	s_waitcnt lgkmcnt(0)
	v_min_i32_e32 v6, v5, v1
	v_cmp_lt_i32_e32 vcc_lo, v1, v5
	v_sub_nc_u32_e32 v7, v9, v6
	v_add_nc_u32_e32 v6, 1, v6
	v_add_nc_u32_e32 v1, v7, v2
	v_cmp_eq_u32_e64 s0, v7, v6
	s_and_b32 s0, vcc_lo, s0
	v_cndmask_b32_e64 v5, 0, 1, s0
.LBB21_71:
	s_or_b32 exec_lo, exec_lo, s1
	v_add_nc_u32_e32 v2, v5, v3
	s_lshl_b32 s0, s31, 16
	v_or_b32_e32 v3, s0, v17
	v_sub_co_u32 v6, s0, v0, 1
	v_sub_nc_u32_e32 v7, v2, v1
	v_lshl_or_b32 v5, v1, 16, v7
	v_cndmask_b32_e64 v8, v5, v3, s0
	v_cndmask_b32_e64 v5, v6, 0xff, s0
	v_add_nc_u32_e32 v3, s31, v7
	v_lshlrev_b32_e32 v6, 2, v1
	v_lshlrev_b32_e32 v9, 2, v5
	v_lshlrev_b32_e32 v5, 2, v3
	ds_write_b32 v9, v8 offset:18432
	s_waitcnt lgkmcnt(0)
	s_barrier
	buffer_gl0_inv
	ds_read_b32 v23, v4
	ds_read_b32 v25, v6 offset:19456
	ds_read_b32 v26, v5 offset:19456
	s_waitcnt lgkmcnt(2)
	v_cmp_le_i32_sdwa s2, sext(v23), v1 src0_sel:WORD_1 src1_sel:DWORD
	v_cmp_le_i32_sdwa s3, v23, v7 src0_sel:WORD_0 src1_sel:DWORD
	s_waitcnt lgkmcnt(0)
	v_cmp_lt_i32_e32 vcc_lo, v26, v25
	v_mov_b32_e32 v27, v25
	v_cndmask_b32_e64 v7, 0, 1, s2
	v_cndmask_b32_e64 v4, 0, 1, vcc_lo
	s_or_b32 vcc_lo, s2, s3
	v_cndmask_b32_e32 v4, v4, v7, vcc_lo
	v_and_b32_e32 v4, 1, v4
	v_cmp_eq_u32_e64 s1, 1, v4
	s_xor_b32 s5, s1, -1
	s_and_saveexec_b32 s4, s5
; %bb.72:
	v_add_nc_u32_e32 v4, 0x4800, v6
	v_add_nc_u32_e32 v1, 1, v1
	ds_read_b32 v27, v4 offset:1028
; %bb.73:
	s_or_b32 exec_lo, exec_lo, s4
	s_xor_b32 s4, s2, -1
	v_cmp_lt_i32_e64 s2, v25, v26
	v_mov_b32_e32 v28, v26
	v_cndmask_b32_e64 v4, 0, 1, s2
	s_and_b32 s2, s3, s4
	v_cndmask_b32_e64 v6, 0, 1, s2
	v_cndmask_b32_e32 v4, v4, v6, vcc_lo
	v_and_b32_e32 v4, 1, v4
	v_cmp_eq_u32_e32 vcc_lo, 1, v4
	s_xor_b32 s3, vcc_lo, -1
	s_and_saveexec_b32 s2, s3
; %bb.74:
	v_add_nc_u32_e32 v4, 0x4800, v5
	v_add_nc_u32_e32 v3, 1, v3
	ds_read_b32 v28, v4 offset:1028
; %bb.75:
	s_or_b32 exec_lo, exec_lo, s2
	v_add_nc_u32_sdwa v24, v23, s31 dst_sel:DWORD dst_unused:UNUSED_PAD src0_sel:WORD_0 src1_sel:DWORD
	v_cmp_ge_i32_sdwa s4, v1, sext(v23) src0_sel:DWORD src1_sel:WORD_1
	s_waitcnt lgkmcnt(0)
	v_cmp_lt_i32_e64 s2, v28, v27
	v_mov_b32_e32 v29, v27
	v_cmp_ge_i32_e32 vcc_lo, v3, v24
	v_cndmask_b32_e64 v4, 0, 1, s4
	v_cndmask_b32_e64 v5, 0, 1, s2
	s_or_b32 s2, s4, vcc_lo
	v_cndmask_b32_e64 v4, v5, v4, s2
	v_and_b32_e32 v4, 1, v4
	v_cmp_eq_u32_e64 s2, 1, v4
	v_mov_b32_e32 v4, v1
	s_xor_b32 s5, s2, -1
	s_and_saveexec_b32 s3, s5
; %bb.76:
	v_lshlrev_b32_e32 v4, 2, v1
	ds_read_b32 v29, v4 offset:19460
	v_add_nc_u32_e32 v4, 1, v1
; %bb.77:
	s_or_b32 exec_lo, exec_lo, s3
	v_cmp_lt_i32_e64 s3, v27, v28
	s_xor_b32 s4, s4, -1
	v_mov_b32_e32 v30, v28
	v_mov_b32_e32 v5, v3
	s_or_b32 s3, vcc_lo, s3
	s_and_b32 s3, s4, s3
	s_xor_b32 s4, s3, -1
	s_and_saveexec_b32 s3, s4
; %bb.78:
	v_lshlrev_b32_e32 v5, 2, v3
	ds_read_b32 v30, v5 offset:19460
	v_add_nc_u32_e32 v5, 1, v3
; %bb.79:
	s_or_b32 exec_lo, exec_lo, s3
	v_cmp_ge_i32_sdwa s5, v4, sext(v23) src0_sel:DWORD src1_sel:WORD_1
	s_waitcnt lgkmcnt(0)
	v_cmp_lt_i32_e64 s3, v30, v29
	v_cmp_ge_i32_e32 vcc_lo, v5, v24
	v_mov_b32_e32 v31, v29
	v_cndmask_b32_e64 v6, 0, 1, s5
	v_cndmask_b32_e64 v7, 0, 1, s3
	s_or_b32 s3, s5, vcc_lo
	v_cndmask_b32_e64 v6, v7, v6, s3
	v_and_b32_e32 v6, 1, v6
	v_cmp_eq_u32_e64 s3, 1, v6
	v_mov_b32_e32 v6, v4
	s_xor_b32 s6, s3, -1
	s_and_saveexec_b32 s4, s6
; %bb.80:
	v_lshlrev_b32_e32 v6, 2, v4
	ds_read_b32 v31, v6 offset:19460
	v_add_nc_u32_e32 v6, 1, v4
; %bb.81:
	s_or_b32 exec_lo, exec_lo, s4
	v_cmp_lt_i32_e64 s4, v29, v30
	s_xor_b32 s5, s5, -1
	v_mov_b32_e32 v32, v30
	v_mov_b32_e32 v7, v5
	s_or_b32 s4, vcc_lo, s4
	s_and_b32 s4, s5, s4
	s_xor_b32 s5, s4, -1
	s_and_saveexec_b32 s4, s5
; %bb.82:
	v_lshlrev_b32_e32 v7, 2, v5
	ds_read_b32 v32, v7 offset:19460
	v_add_nc_u32_e32 v7, 1, v5
; %bb.83:
	s_or_b32 exec_lo, exec_lo, s4
	v_cmp_ge_i32_sdwa s6, v6, sext(v23) src0_sel:DWORD src1_sel:WORD_1
	s_waitcnt lgkmcnt(0)
	v_cmp_lt_i32_e64 s4, v32, v31
	v_cmp_ge_i32_e32 vcc_lo, v7, v24
	v_mov_b32_e32 v33, v31
	;; [unrolled: 34-line block ×5, first 2 shown]
	v_cndmask_b32_e64 v14, 0, 1, s9
	v_cndmask_b32_e64 v15, 0, 1, s7
	s_or_b32 s7, s9, vcc_lo
	v_cndmask_b32_e64 v14, v15, v14, s7
	v_and_b32_e32 v14, 1, v14
	v_cmp_eq_u32_e64 s7, 1, v14
	v_mov_b32_e32 v14, v12
	s_xor_b32 s10, s7, -1
	s_and_saveexec_b32 s8, s10
; %bb.96:
	v_lshlrev_b32_e32 v14, 2, v12
	ds_read_b32 v39, v14 offset:19460
	v_add_nc_u32_e32 v14, 1, v12
; %bb.97:
	s_or_b32 exec_lo, exec_lo, s8
	v_cmp_lt_i32_e64 s8, v37, v38
	s_xor_b32 s9, s9, -1
	v_mov_b32_e32 v40, v38
	v_mov_b32_e32 v16, v13
	s_or_b32 s8, vcc_lo, s8
	s_and_b32 s8, s9, s8
	s_xor_b32 s9, s8, -1
	s_and_saveexec_b32 s8, s9
; %bb.98:
	v_lshlrev_b32_e32 v15, 2, v13
	v_add_nc_u32_e32 v16, 1, v13
	ds_read_b32 v40, v15 offset:19460
; %bb.99:
	s_or_b32 exec_lo, exec_lo, s8
	v_cmp_ge_i32_sdwa s10, v14, sext(v23) src0_sel:DWORD src1_sel:WORD_1
	s_waitcnt lgkmcnt(0)
	v_cmp_lt_i32_e64 s8, v40, v39
	v_cmp_ge_i32_e32 vcc_lo, v16, v24
	v_cndmask_b32_e64 v15, 0, 1, s10
	v_cndmask_b32_e64 v41, 0, 1, s8
	s_or_b32 s8, s10, vcc_lo
	v_cndmask_b32_e64 v15, v41, v15, s8
	v_mov_b32_e32 v41, v39
	v_and_b32_e32 v15, 1, v15
	v_cmp_eq_u32_e64 s8, 1, v15
	v_mov_b32_e32 v15, v14
	s_xor_b32 s11, s8, -1
	s_and_saveexec_b32 s9, s11
; %bb.100:
	v_lshlrev_b32_e32 v15, 2, v14
	ds_read_b32 v41, v15 offset:19460
	v_add_nc_u32_e32 v15, 1, v14
; %bb.101:
	s_or_b32 exec_lo, exec_lo, s9
	v_cmp_lt_i32_e64 s9, v39, v40
	s_xor_b32 s10, s10, -1
	v_mov_b32_e32 v42, v40
	v_mov_b32_e32 v59, v16
	s_or_b32 s9, vcc_lo, s9
	s_and_b32 s9, s10, s9
	s_xor_b32 s10, s9, -1
	s_and_saveexec_b32 s9, s10
; %bb.102:
	v_lshlrev_b32_e32 v42, 2, v16
	v_add_nc_u32_e32 v59, 1, v16
	ds_read_b32 v42, v42 offset:19460
; %bb.103:
	s_or_b32 exec_lo, exec_lo, s9
	v_cmp_ge_i32_sdwa s11, v15, sext(v23) src0_sel:DWORD src1_sel:WORD_1
	s_waitcnt lgkmcnt(0)
	v_cmp_lt_i32_e64 s9, v42, v41
	v_cmp_ge_i32_e32 vcc_lo, v59, v24
	v_mov_b32_e32 v60, v15
	v_cndmask_b32_e64 v43, 0, 1, s11
	v_cndmask_b32_e64 v44, 0, 1, s9
	s_or_b32 s9, s11, vcc_lo
	v_cndmask_b32_e64 v43, v44, v43, s9
	v_and_b32_e32 v43, 1, v43
	v_cmp_eq_u32_e64 s9, 1, v43
	v_mov_b32_e32 v43, v41
	s_xor_b32 s12, s9, -1
	s_and_saveexec_b32 s10, s12
; %bb.104:
	v_lshlrev_b32_e32 v43, 2, v15
	v_add_nc_u32_e32 v60, 1, v15
	ds_read_b32 v43, v43 offset:19460
; %bb.105:
	s_or_b32 exec_lo, exec_lo, s10
	v_cmp_lt_i32_e64 s10, v41, v42
	s_xor_b32 s11, s11, -1
	v_mov_b32_e32 v44, v42
	v_mov_b32_e32 v61, v59
	s_or_b32 s10, vcc_lo, s10
	s_and_b32 s10, s11, s10
	s_xor_b32 s11, s10, -1
	s_and_saveexec_b32 s10, s11
; %bb.106:
	v_lshlrev_b32_e32 v44, 2, v59
	v_add_nc_u32_e32 v61, 1, v59
	ds_read_b32 v44, v44 offset:19460
; %bb.107:
	s_or_b32 exec_lo, exec_lo, s10
	v_cmp_ge_i32_sdwa s12, v60, sext(v23) src0_sel:DWORD src1_sel:WORD_1
	s_waitcnt lgkmcnt(0)
	v_cmp_lt_i32_e64 s10, v44, v43
	v_cmp_ge_i32_e32 vcc_lo, v61, v24
	v_mov_b32_e32 v62, v60
	v_cndmask_b32_e64 v45, 0, 1, s12
	v_cndmask_b32_e64 v46, 0, 1, s10
	s_or_b32 s10, s12, vcc_lo
	v_cndmask_b32_e64 v45, v46, v45, s10
	v_and_b32_e32 v45, 1, v45
	v_cmp_eq_u32_e64 s10, 1, v45
	v_mov_b32_e32 v45, v43
	s_xor_b32 s13, s10, -1
	s_and_saveexec_b32 s11, s13
; %bb.108:
	v_lshlrev_b32_e32 v45, 2, v60
	v_add_nc_u32_e32 v62, 1, v60
	ds_read_b32 v45, v45 offset:19460
	;; [unrolled: 34-line block ×6, first 2 shown]
; %bb.125:
	s_or_b32 exec_lo, exec_lo, s15
	v_cmp_lt_i32_e64 s15, v51, v52
	s_xor_b32 s16, s16, -1
	v_mov_b32_e32 v54, v52
	v_mov_b32_e32 v71, v69
	s_or_b32 s15, vcc_lo, s15
	s_and_b32 s15, s16, s15
	s_xor_b32 s16, s15, -1
	s_and_saveexec_b32 s15, s16
; %bb.126:
	v_lshlrev_b32_e32 v54, 2, v69
	v_add_nc_u32_e32 v71, 1, v69
	ds_read_b32 v54, v54 offset:19460
; %bb.127:
	s_or_b32 exec_lo, exec_lo, s15
	v_cmp_ge_i32_sdwa s17, v70, sext(v23) src0_sel:DWORD src1_sel:WORD_1
	s_waitcnt lgkmcnt(0)
	v_cmp_lt_i32_e64 s15, v54, v53
	v_cmp_ge_i32_e32 vcc_lo, v71, v24
	v_cndmask_b32_e64 v55, 0, 1, s17
	v_cndmask_b32_e64 v56, 0, 1, s15
	s_or_b32 s15, s17, vcc_lo
	v_cndmask_b32_e64 v55, v56, v55, s15
	v_mov_b32_e32 v56, v70
	v_and_b32_e32 v55, 1, v55
	v_cmp_eq_u32_e64 s15, 1, v55
	v_mov_b32_e32 v55, v53
	s_xor_b32 s18, s15, -1
	s_and_saveexec_b32 s16, s18
; %bb.128:
	v_lshlrev_b32_e32 v55, 2, v70
	v_add_nc_u32_e32 v56, 1, v70
	ds_read_b32 v55, v55 offset:19460
; %bb.129:
	s_or_b32 exec_lo, exec_lo, s16
	v_cmp_lt_i32_e64 s16, v53, v54
	s_xor_b32 s17, s17, -1
	v_mov_b32_e32 v57, v54
	v_mov_b32_e32 v58, v71
	s_or_b32 s16, vcc_lo, s16
	s_and_b32 s16, s17, s16
	s_xor_b32 s17, s16, -1
	s_and_saveexec_b32 s16, s17
; %bb.130:
	v_lshlrev_b32_e32 v57, 2, v71
	v_add_nc_u32_e32 v58, 1, v71
	ds_read_b32 v57, v57 offset:19460
; %bb.131:
	s_or_b32 exec_lo, exec_lo, s16
	v_add_nc_u32_sdwa v73, v24, sext(v23) dst_sel:DWORD dst_unused:UNUSED_PAD src0_sel:DWORD src1_sel:WORD_1
	v_add_nc_u32_e32 v4, v5, v4
	v_add_nc_u32_e32 v1, v3, v1
	;; [unrolled: 1-line block ×5, first 2 shown]
	v_cmp_lt_i32_e64 s19, v4, v73
	v_cmp_lt_i32_e64 s20, v1, v73
	;; [unrolled: 1-line block ×3, first 2 shown]
	v_add_nc_u32_e32 v12, v13, v12
	v_cmp_lt_i32_e64 s17, v5, v73
	v_cndmask_b32_e64 v4, 0, 4, s19
	v_cndmask_b32_e64 v1, 0, 2, s20
	;; [unrolled: 1-line block ×3, first 2 shown]
	v_cmp_lt_i32_e64 s18, v3, v73
	v_add_nc_u32_e32 v14, v16, v14
	v_add_nc_u32_e32 v10, v11, v10
	v_cndmask_b32_e64 v5, 0, 16, s17
	v_or3_b32 v1, v1, v2, v4
	v_cndmask_b32_e64 v3, 0, 8, s18
	v_cmp_lt_i32_e32 vcc_lo, v12, v73
	v_cmp_lt_i32_e64 s16, v10, v73
	v_add_nc_u32_e32 v65, v65, v64
	v_add_nc_u32_e32 v62, v63, v62
	v_or3_b32 v1, v1, v3, v5
	v_cndmask_b32_e64 v2, 0, 64, vcc_lo
	v_add_nc_u32_e32 v3, v61, v60
	v_cmp_lt_i32_e32 vcc_lo, v14, v73
	v_cndmask_b32_e64 v4, 0, 32, s16
	v_add_nc_u32_e32 v5, v59, v15
	v_add_nc_u32_e32 v68, v69, v68
	;; [unrolled: 1-line block ×3, first 2 shown]
	v_cndmask_b32_e64 v6, 0, 0x80, vcc_lo
	v_cmp_lt_i32_e32 vcc_lo, v3, v73
	v_or3_b32 v64, v1, v4, v2
	v_add_nc_u32_e32 v72, v58, v56
	v_add_nc_u32_e32 v70, v71, v70
	v_mov_b32_e32 v10, 0
	v_cndmask_b32_e64 v1, 0, 0x200, vcc_lo
	v_cmp_lt_i32_e32 vcc_lo, v5, v73
	v_or_b32_e32 v63, v6, v64
	s_cmp_lg_u32 s30, 0
	s_waitcnt lgkmcnt(0)
	s_barrier
	v_cndmask_b32_e64 v2, 0, 0x100, vcc_lo
	v_cmp_lt_i32_e32 vcc_lo, v65, v73
	buffer_gl0_inv
	v_cndmask_b32_e64 v3, 0, 0x800, vcc_lo
	v_cmp_lt_i32_e32 vcc_lo, v62, v73
	v_or3_b32 v62, v2, v1, v63
	v_cndmask_b32_e64 v4, 0, 0x400, vcc_lo
	v_cmp_lt_i32_e32 vcc_lo, v68, v73
	v_or3_b32 v61, v4, v3, v62
	v_cndmask_b32_e64 v1, 0, 0x2000, vcc_lo
	v_cmp_lt_i32_e32 vcc_lo, v66, v73
	v_cndmask_b32_e64 v2, 0, 0x1000, vcc_lo
	v_cmp_lt_i32_e32 vcc_lo, v72, v73
	v_or3_b32 v60, v2, v1, v61
	v_cndmask_b32_e64 v3, 0, 0x8000, vcc_lo
	v_cmp_lt_i32_e32 vcc_lo, v70, v73
	v_cndmask_b32_e64 v4, 0, 0x4000, vcc_lo
	v_or3_b32 v59, v4, v3, v60
	v_bcnt_u32_b32 v9, v59, 0
	s_cbranch_scc0 .LBB21_189
; %bb.132:
	v_mbcnt_lo_u32_b32 v65, -1, 0
	v_mov_b32_e32 v1, v9
	v_mov_b32_dpp v7, v9 row_shr:1 row_mask:0xf bank_mask:0xf
	v_mov_b32_dpp v6, v10 row_shr:1 row_mask:0xf bank_mask:0xf
	v_mov_b32_e32 v4, v9
	v_and_b32_e32 v5, 15, v65
	v_mov_b32_e32 v3, v10
	v_mov_b32_e32 v2, v10
	s_mov_b32 s22, exec_lo
	v_cmpx_ne_u32_e32 0, v5
; %bb.133:
	v_add_co_u32 v4, s23, v7, v9
	v_add_co_ci_u32_e64 v1, null, 0, 0, s23
	v_add_co_u32 v2, vcc_lo, 0, v4
	v_add_co_ci_u32_e64 v3, null, v6, v1, vcc_lo
	v_mov_b32_e32 v1, v2
	v_mov_b32_e32 v2, v3
; %bb.134:
	s_or_b32 exec_lo, exec_lo, s22
	v_mov_b32_dpp v7, v4 row_shr:2 row_mask:0xf bank_mask:0xf
	v_mov_b32_dpp v6, v3 row_shr:2 row_mask:0xf bank_mask:0xf
	s_mov_b32 s22, exec_lo
	v_cmpx_lt_u32_e32 1, v5
; %bb.135:
	v_add_co_u32 v4, vcc_lo, v1, v7
	v_add_co_ci_u32_e64 v1, null, 0, v2, vcc_lo
	v_add_co_u32 v2, vcc_lo, 0, v4
	v_add_co_ci_u32_e64 v3, null, v6, v1, vcc_lo
	v_mov_b32_e32 v1, v2
	v_mov_b32_e32 v2, v3
; %bb.136:
	s_or_b32 exec_lo, exec_lo, s22
	v_mov_b32_dpp v7, v4 row_shr:4 row_mask:0xf bank_mask:0xf
	v_mov_b32_dpp v6, v3 row_shr:4 row_mask:0xf bank_mask:0xf
	s_mov_b32 s22, exec_lo
	v_cmpx_lt_u32_e32 3, v5
; %bb.137:
	v_add_co_u32 v4, vcc_lo, v1, v7
	v_add_co_ci_u32_e64 v1, null, 0, v2, vcc_lo
	;; [unrolled: 13-line block ×3, first 2 shown]
	v_add_co_u32 v1, vcc_lo, 0, v4
	v_add_co_ci_u32_e64 v2, null, v6, v2, vcc_lo
	v_mov_b32_e32 v3, v2
; %bb.140:
	s_or_b32 exec_lo, exec_lo, s22
	ds_swizzle_b32 v5, v4 offset:swizzle(BROADCAST,32,15)
	ds_swizzle_b32 v3, v3 offset:swizzle(BROADCAST,32,15)
	v_and_b32_e32 v6, 16, v65
	s_mov_b32 s22, exec_lo
	v_cmpx_ne_u32_e32 0, v6
	s_cbranch_execz .LBB21_142
; %bb.141:
	s_waitcnt lgkmcnt(1)
	v_add_co_u32 v4, vcc_lo, v1, v5
	v_add_co_ci_u32_e64 v2, null, 0, v2, vcc_lo
	v_add_co_u32 v1, vcc_lo, 0, v4
	s_waitcnt lgkmcnt(0)
	v_add_co_ci_u32_e64 v2, null, v3, v2, vcc_lo
.LBB21_142:
	s_or_b32 exec_lo, exec_lo, s22
	s_waitcnt lgkmcnt(0)
	v_or_b32_e32 v3, 31, v0
	v_lshrrev_b32_e32 v5, 5, v0
	v_cmp_eq_u32_e32 vcc_lo, v0, v3
	v_lshlrev_b32_e32 v3, 3, v5
	s_and_saveexec_b32 s22, vcc_lo
; %bb.143:
	ds_write_b64 v3, v[1:2] offset:18432
; %bb.144:
	s_or_b32 exec_lo, exec_lo, s22
	s_mov_b32 s22, exec_lo
	s_waitcnt lgkmcnt(0)
	s_barrier
	buffer_gl0_inv
	v_cmpx_gt_u32_e32 8, v0
	s_cbranch_execz .LBB21_152
; %bb.145:
	v_lshlrev_b32_e32 v6, 3, v0
	v_and_b32_e32 v5, 7, v65
	s_mov_b32 s23, exec_lo
	ds_read_b64 v[1:2], v6 offset:18432
	s_waitcnt lgkmcnt(0)
	v_mov_b32_dpp v11, v1 row_shr:1 row_mask:0xf bank_mask:0xf
	v_mov_b32_dpp v8, v2 row_shr:1 row_mask:0xf bank_mask:0xf
	v_mov_b32_e32 v7, v1
	v_cmpx_ne_u32_e32 0, v5
; %bb.146:
	v_add_co_u32 v7, vcc_lo, v1, v11
	v_add_co_ci_u32_e64 v2, null, 0, v2, vcc_lo
	v_add_co_u32 v1, vcc_lo, 0, v7
	v_add_co_ci_u32_e64 v2, null, v8, v2, vcc_lo
; %bb.147:
	s_or_b32 exec_lo, exec_lo, s23
	v_mov_b32_dpp v11, v7 row_shr:2 row_mask:0xf bank_mask:0xf
	v_mov_b32_dpp v8, v2 row_shr:2 row_mask:0xf bank_mask:0xf
	s_mov_b32 s23, exec_lo
	v_cmpx_lt_u32_e32 1, v5
; %bb.148:
	v_add_co_u32 v7, vcc_lo, v1, v11
	v_add_co_ci_u32_e64 v2, null, 0, v2, vcc_lo
	v_add_co_u32 v1, vcc_lo, 0, v7
	v_add_co_ci_u32_e64 v2, null, v8, v2, vcc_lo
; %bb.149:
	s_or_b32 exec_lo, exec_lo, s23
	v_or_b32_e32 v6, 0x4800, v6
	v_mov_b32_dpp v8, v7 row_shr:4 row_mask:0xf bank_mask:0xf
	v_mov_b32_dpp v7, v2 row_shr:4 row_mask:0xf bank_mask:0xf
	s_mov_b32 s23, exec_lo
	v_cmpx_lt_u32_e32 3, v5
; %bb.150:
	v_add_co_u32 v1, vcc_lo, v1, v8
	v_add_co_ci_u32_e64 v2, null, 0, v2, vcc_lo
	v_add_co_u32 v1, vcc_lo, v1, 0
	v_add_co_ci_u32_e64 v2, null, v2, v7, vcc_lo
; %bb.151:
	s_or_b32 exec_lo, exec_lo, s23
	ds_write_b64 v6, v[1:2]
.LBB21_152:
	s_or_b32 exec_lo, exec_lo, s22
	s_mov_b32 s23, exec_lo
	v_cmp_gt_u32_e32 vcc_lo, 32, v0
	s_waitcnt lgkmcnt(0)
	s_barrier
	buffer_gl0_inv
                                        ; implicit-def: $vgpr11_vgpr12
	v_cmpx_lt_u32_e32 31, v0
	s_cbranch_execz .LBB21_154
; %bb.153:
	ds_read_b64 v[11:12], v3 offset:18424
	s_waitcnt lgkmcnt(0)
	v_add_nc_u32_e32 v4, v4, v11
.LBB21_154:
	s_or_b32 exec_lo, exec_lo, s23
	v_sub_co_u32 v1, s22, v65, 1
	v_cmp_gt_i32_e64 s23, 0, v1
	v_cndmask_b32_e64 v1, v1, v65, s23
	v_lshlrev_b32_e32 v1, 2, v1
	ds_bpermute_b32 v66, v1, v4
	s_and_saveexec_b32 s23, vcc_lo
	s_cbranch_execz .LBB21_194
; %bb.155:
	v_mov_b32_e32 v4, 0
	ds_read_b64 v[1:2], v4 offset:18488
	s_and_saveexec_b32 s33, s22
	s_cbranch_execz .LBB21_157
; %bb.156:
	s_add_i32 s34, s30, 32
	s_mov_b32 s35, 0
	v_mov_b32_e32 v3, 1
	s_lshl_b64 s[34:35], s[34:35], 4
	s_add_u32 s34, s28, s34
	s_addc_u32 s35, s29, s35
	v_mov_b32_e32 v5, s34
	v_mov_b32_e32 v6, s35
	s_waitcnt lgkmcnt(0)
	;;#ASMSTART
	global_store_dwordx4 v[5:6], v[1:4] off	
s_waitcnt vmcnt(0)
	;;#ASMEND
.LBB21_157:
	s_or_b32 exec_lo, exec_lo, s33
	v_xad_u32 v13, v65, -1, s30
	s_mov_b32 s34, 0
	v_add_nc_u32_e32 v3, 32, v13
	v_lshlrev_b64 v[5:6], 4, v[3:4]
	v_add_co_u32 v14, vcc_lo, s28, v5
	v_add_co_ci_u32_e64 v15, null, s29, v6, vcc_lo
	;;#ASMSTART
	global_load_dwordx4 v[5:8], v[14:15] off glc dlc	
s_waitcnt vmcnt(0)
	;;#ASMEND
	v_cmp_eq_u16_sdwa s35, v7, v4 src0_sel:BYTE_0 src1_sel:DWORD
	s_and_saveexec_b32 s33, s35
	s_cbranch_execz .LBB21_161
; %bb.158:
	v_mov_b32_e32 v3, 0
.LBB21_159:                             ; =>This Inner Loop Header: Depth=1
	;;#ASMSTART
	global_load_dwordx4 v[5:8], v[14:15] off glc dlc	
s_waitcnt vmcnt(0)
	;;#ASMEND
	v_cmp_ne_u16_sdwa s35, v7, v3 src0_sel:BYTE_0 src1_sel:DWORD
	s_or_b32 s34, s35, s34
	s_andn2_b32 exec_lo, exec_lo, s34
	s_cbranch_execnz .LBB21_159
; %bb.160:
	s_or_b32 exec_lo, exec_lo, s34
.LBB21_161:
	s_or_b32 exec_lo, exec_lo, s33
	v_cmp_ne_u32_e32 vcc_lo, 31, v65
	v_mov_b32_e32 v4, 2
	v_lshlrev_b32_e64 v68, v65, -1
	v_add_co_ci_u32_e64 v3, null, 0, v65, vcc_lo
	v_cmp_eq_u16_sdwa s33, v7, v4 src0_sel:BYTE_0 src1_sel:DWORD
	v_mov_b32_e32 v4, v5
	v_lshlrev_b32_e32 v67, 2, v3
	v_and_or_b32 v3, s33, v68, 0x80000000
	s_mov_b32 s33, exec_lo
	ds_bpermute_b32 v14, v67, v5
	ds_bpermute_b32 v8, v67, v6
	v_ffbl_b32_e32 v3, v3
	v_cmpx_lt_u32_e64 v65, v3
	s_cbranch_execz .LBB21_163
; %bb.162:
	s_waitcnt lgkmcnt(1)
	v_add_co_u32 v4, vcc_lo, v5, v14
	v_add_co_ci_u32_e64 v6, null, 0, v6, vcc_lo
	v_add_co_u32 v5, vcc_lo, 0, v4
	s_waitcnt lgkmcnt(0)
	v_add_co_ci_u32_e64 v6, null, v8, v6, vcc_lo
.LBB21_163:
	s_or_b32 exec_lo, exec_lo, s33
	v_cmp_gt_u32_e32 vcc_lo, 30, v65
	v_add_nc_u32_e32 v70, 2, v65
	s_mov_b32 s33, exec_lo
	s_waitcnt lgkmcnt(0)
	v_cndmask_b32_e64 v8, 0, 2, vcc_lo
	v_add_lshl_u32 v69, v8, v65, 2
	ds_bpermute_b32 v14, v69, v4
	ds_bpermute_b32 v8, v69, v6
	v_cmpx_le_u32_e64 v70, v3
	s_cbranch_execz .LBB21_165
; %bb.164:
	s_waitcnt lgkmcnt(1)
	v_add_co_u32 v4, vcc_lo, v5, v14
	v_add_co_ci_u32_e64 v6, null, 0, v6, vcc_lo
	v_add_co_u32 v5, vcc_lo, 0, v4
	s_waitcnt lgkmcnt(0)
	v_add_co_ci_u32_e64 v6, null, v8, v6, vcc_lo
.LBB21_165:
	s_or_b32 exec_lo, exec_lo, s33
	v_cmp_gt_u32_e32 vcc_lo, 28, v65
	v_add_nc_u32_e32 v72, 4, v65
	s_mov_b32 s33, exec_lo
	s_waitcnt lgkmcnt(0)
	v_cndmask_b32_e64 v8, 0, 4, vcc_lo
	v_add_lshl_u32 v71, v8, v65, 2
	ds_bpermute_b32 v14, v71, v4
	ds_bpermute_b32 v8, v71, v6
	v_cmpx_le_u32_e64 v72, v3
	;; [unrolled: 19-line block ×3, first 2 shown]
	s_cbranch_execz .LBB21_169
; %bb.168:
	s_waitcnt lgkmcnt(1)
	v_add_co_u32 v4, vcc_lo, v5, v14
	v_add_co_ci_u32_e64 v6, null, 0, v6, vcc_lo
	v_add_co_u32 v5, vcc_lo, 0, v4
	s_waitcnt lgkmcnt(0)
	v_add_co_ci_u32_e64 v6, null, v8, v6, vcc_lo
.LBB21_169:
	s_or_b32 exec_lo, exec_lo, s33
	v_lshl_or_b32 v75, v65, 2, 64
	v_add_nc_u32_e32 v76, 16, v65
	s_mov_b32 s33, exec_lo
	s_waitcnt lgkmcnt(0)
	ds_bpermute_b32 v8, v75, v4
	ds_bpermute_b32 v4, v75, v6
	v_cmpx_le_u32_e64 v76, v3
	s_cbranch_execz .LBB21_171
; %bb.170:
	s_waitcnt lgkmcnt(1)
	v_add_co_u32 v3, vcc_lo, v5, v8
	v_add_co_ci_u32_e64 v6, null, 0, v6, vcc_lo
	v_add_co_u32 v5, vcc_lo, v3, 0
	s_waitcnt lgkmcnt(0)
	v_add_co_ci_u32_e64 v6, null, v6, v4, vcc_lo
.LBB21_171:
	s_or_b32 exec_lo, exec_lo, s33
	v_mov_b32_e32 v14, 0
	v_mov_b32_e32 v77, 2
	s_branch .LBB21_174
.LBB21_172:                             ;   in Loop: Header=BB21_174 Depth=1
	s_or_b32 exec_lo, exec_lo, s33
	v_add_co_u32 v5, vcc_lo, v5, v3
	v_subrev_nc_u32_e32 v13, 32, v13
	v_add_co_ci_u32_e64 v6, null, v6, v4, vcc_lo
	s_mov_b32 s33, 0
.LBB21_173:                             ;   in Loop: Header=BB21_174 Depth=1
	s_and_b32 vcc_lo, exec_lo, s33
	s_cbranch_vccnz .LBB21_190
.LBB21_174:                             ; =>This Loop Header: Depth=1
                                        ;     Child Loop BB21_177 Depth 2
	v_cmp_ne_u16_sdwa s33, v7, v77 src0_sel:BYTE_0 src1_sel:DWORD
	s_waitcnt lgkmcnt(0)
	v_mov_b32_e32 v3, v5
	v_mov_b32_e32 v4, v6
                                        ; implicit-def: $vgpr5_vgpr6
	s_cmp_lg_u32 s33, exec_lo
	s_mov_b32 s33, -1
	s_cbranch_scc1 .LBB21_173
; %bb.175:                              ;   in Loop: Header=BB21_174 Depth=1
	v_lshlrev_b64 v[5:6], 4, v[13:14]
	v_add_co_u32 v15, vcc_lo, s28, v5
	v_add_co_ci_u32_e64 v16, null, s29, v6, vcc_lo
	;;#ASMSTART
	global_load_dwordx4 v[5:8], v[15:16] off glc dlc	
s_waitcnt vmcnt(0)
	;;#ASMEND
	v_cmp_eq_u16_sdwa s34, v7, v14 src0_sel:BYTE_0 src1_sel:DWORD
	s_and_saveexec_b32 s33, s34
	s_cbranch_execz .LBB21_179
; %bb.176:                              ;   in Loop: Header=BB21_174 Depth=1
	s_mov_b32 s34, 0
.LBB21_177:                             ;   Parent Loop BB21_174 Depth=1
                                        ; =>  This Inner Loop Header: Depth=2
	;;#ASMSTART
	global_load_dwordx4 v[5:8], v[15:16] off glc dlc	
s_waitcnt vmcnt(0)
	;;#ASMEND
	v_cmp_ne_u16_sdwa s35, v7, v14 src0_sel:BYTE_0 src1_sel:DWORD
	s_or_b32 s34, s35, s34
	s_andn2_b32 exec_lo, exec_lo, s34
	s_cbranch_execnz .LBB21_177
; %bb.178:                              ;   in Loop: Header=BB21_174 Depth=1
	s_or_b32 exec_lo, exec_lo, s34
.LBB21_179:                             ;   in Loop: Header=BB21_174 Depth=1
	s_or_b32 exec_lo, exec_lo, s33
	ds_bpermute_b32 v78, v67, v5
	ds_bpermute_b32 v16, v67, v6
	v_cmp_eq_u16_sdwa s33, v7, v77 src0_sel:BYTE_0 src1_sel:DWORD
	v_mov_b32_e32 v15, v5
	v_and_or_b32 v8, s33, v68, 0x80000000
	s_mov_b32 s33, exec_lo
	v_ffbl_b32_e32 v8, v8
	v_cmpx_lt_u32_e64 v65, v8
	s_cbranch_execz .LBB21_181
; %bb.180:                              ;   in Loop: Header=BB21_174 Depth=1
	s_waitcnt lgkmcnt(1)
	v_add_co_u32 v15, vcc_lo, v5, v78
	v_add_co_ci_u32_e64 v6, null, 0, v6, vcc_lo
	v_add_co_u32 v5, vcc_lo, 0, v15
	s_waitcnt lgkmcnt(0)
	v_add_co_ci_u32_e64 v6, null, v16, v6, vcc_lo
.LBB21_181:                             ;   in Loop: Header=BB21_174 Depth=1
	s_or_b32 exec_lo, exec_lo, s33
	s_waitcnt lgkmcnt(1)
	ds_bpermute_b32 v78, v69, v15
	s_waitcnt lgkmcnt(1)
	ds_bpermute_b32 v16, v69, v6
	s_mov_b32 s33, exec_lo
	v_cmpx_le_u32_e64 v70, v8
	s_cbranch_execz .LBB21_183
; %bb.182:                              ;   in Loop: Header=BB21_174 Depth=1
	s_waitcnt lgkmcnt(1)
	v_add_co_u32 v15, vcc_lo, v5, v78
	v_add_co_ci_u32_e64 v6, null, 0, v6, vcc_lo
	v_add_co_u32 v5, vcc_lo, 0, v15
	s_waitcnt lgkmcnt(0)
	v_add_co_ci_u32_e64 v6, null, v16, v6, vcc_lo
.LBB21_183:                             ;   in Loop: Header=BB21_174 Depth=1
	s_or_b32 exec_lo, exec_lo, s33
	s_waitcnt lgkmcnt(1)
	ds_bpermute_b32 v78, v71, v15
	s_waitcnt lgkmcnt(1)
	ds_bpermute_b32 v16, v71, v6
	s_mov_b32 s33, exec_lo
	v_cmpx_le_u32_e64 v72, v8
	;; [unrolled: 16-line block ×3, first 2 shown]
	s_cbranch_execz .LBB21_187
; %bb.186:                              ;   in Loop: Header=BB21_174 Depth=1
	s_waitcnt lgkmcnt(1)
	v_add_co_u32 v15, vcc_lo, v5, v78
	v_add_co_ci_u32_e64 v6, null, 0, v6, vcc_lo
	v_add_co_u32 v5, vcc_lo, 0, v15
	s_waitcnt lgkmcnt(0)
	v_add_co_ci_u32_e64 v6, null, v16, v6, vcc_lo
.LBB21_187:                             ;   in Loop: Header=BB21_174 Depth=1
	s_or_b32 exec_lo, exec_lo, s33
	s_waitcnt lgkmcnt(0)
	ds_bpermute_b32 v16, v75, v15
	ds_bpermute_b32 v15, v75, v6
	s_mov_b32 s33, exec_lo
	v_cmpx_le_u32_e64 v76, v8
	s_cbranch_execz .LBB21_172
; %bb.188:                              ;   in Loop: Header=BB21_174 Depth=1
	s_waitcnt lgkmcnt(1)
	v_add_co_u32 v5, vcc_lo, v5, v16
	v_add_co_ci_u32_e64 v6, null, 0, v6, vcc_lo
	v_add_co_u32 v5, vcc_lo, v5, 0
	s_waitcnt lgkmcnt(0)
	v_add_co_ci_u32_e64 v6, null, v6, v15, vcc_lo
	s_branch .LBB21_172
.LBB21_189:
                                        ; implicit-def: $vgpr1_vgpr2
                                        ; implicit-def: $vgpr5_vgpr6
	s_movk_i32 s22, 0x4840
	s_cbranch_execnz .LBB21_195
	s_branch .LBB21_218
.LBB21_190:
	s_and_saveexec_b32 s33, s22
	s_cbranch_execz .LBB21_192
; %bb.191:
	s_add_i32 s34, s30, 32
	s_mov_b32 s35, 0
	v_add_co_u32 v5, vcc_lo, v3, v1
	s_lshl_b64 s[34:35], s[34:35], 4
	v_mov_b32_e32 v8, 0
	s_add_u32 s34, s28, s34
	s_addc_u32 s35, s29, s35
	v_mov_b32_e32 v13, s34
	v_add_co_ci_u32_e64 v6, null, v4, v2, vcc_lo
	v_mov_b32_e32 v7, 2
	v_mov_b32_e32 v14, s35
	;;#ASMSTART
	global_store_dwordx4 v[13:14], v[5:8] off	
s_waitcnt vmcnt(0)
	;;#ASMEND
	ds_write_b128 v8, v[1:4] offset:18496
.LBB21_192:
	s_or_b32 exec_lo, exec_lo, s33
	s_and_b32 exec_lo, exec_lo, s0
; %bb.193:
	v_mov_b32_e32 v1, 0
	ds_write_b64 v1, v[3:4] offset:18488
.LBB21_194:
	s_or_b32 exec_lo, exec_lo, s23
	v_mov_b32_e32 v1, 0
	s_waitcnt lgkmcnt(0)
	s_barrier
	buffer_gl0_inv
	v_cndmask_b32_e64 v5, v66, v11, s22
	ds_read_b64 v[3:4], v1 offset:18488
	s_waitcnt lgkmcnt(0)
	s_barrier
	buffer_gl0_inv
	ds_read_b64 v[1:2], v1 offset:18504
	v_cndmask_b32_e64 v6, 0, v12, s22
	v_cndmask_b32_e64 v5, v5, 0, s0
	;; [unrolled: 1-line block ×3, first 2 shown]
	v_add_co_u32 v5, vcc_lo, v3, v5
	v_add_co_ci_u32_e64 v3, null, v4, v6, vcc_lo
	s_movk_i32 s22, 0x4840
	s_branch .LBB21_218
.LBB21_195:
	v_mbcnt_lo_u32_b32 v5, -1, 0
	v_mov_b32_e32 v3, 0
	s_waitcnt lgkmcnt(0)
	v_mov_b32_e32 v1, v9
	v_mov_b32_dpp v7, v9 row_shr:1 row_mask:0xf bank_mask:0xf
	v_mov_b32_e32 v2, v10
	v_and_b32_e32 v4, 15, v5
	v_mov_b32_dpp v6, v3 row_shr:1 row_mask:0xf bank_mask:0xf
	s_mov_b32 s22, exec_lo
	v_cmpx_ne_u32_e32 0, v4
; %bb.196:
	v_add_co_u32 v9, s23, v7, v9
	v_add_co_ci_u32_e64 v1, null, 0, 0, s23
	v_add_co_u32 v2, vcc_lo, 0, v9
	v_add_co_ci_u32_e64 v3, null, v6, v1, vcc_lo
	v_mov_b32_e32 v1, v2
	v_mov_b32_e32 v2, v3
; %bb.197:
	s_or_b32 exec_lo, exec_lo, s22
	v_mov_b32_dpp v7, v9 row_shr:2 row_mask:0xf bank_mask:0xf
	v_mov_b32_dpp v6, v3 row_shr:2 row_mask:0xf bank_mask:0xf
	s_mov_b32 s22, exec_lo
	v_cmpx_lt_u32_e32 1, v4
; %bb.198:
	v_add_co_u32 v9, vcc_lo, v1, v7
	v_add_co_ci_u32_e64 v1, null, 0, v2, vcc_lo
	v_add_co_u32 v2, vcc_lo, 0, v9
	v_add_co_ci_u32_e64 v3, null, v6, v1, vcc_lo
	v_mov_b32_e32 v1, v2
	v_mov_b32_e32 v2, v3
; %bb.199:
	s_or_b32 exec_lo, exec_lo, s22
	v_mov_b32_dpp v7, v9 row_shr:4 row_mask:0xf bank_mask:0xf
	v_mov_b32_dpp v6, v3 row_shr:4 row_mask:0xf bank_mask:0xf
	s_mov_b32 s22, exec_lo
	v_cmpx_lt_u32_e32 3, v4
; %bb.200:
	v_add_co_u32 v9, vcc_lo, v1, v7
	v_add_co_ci_u32_e64 v1, null, 0, v2, vcc_lo
	;; [unrolled: 13-line block ×3, first 2 shown]
	v_add_co_u32 v1, vcc_lo, 0, v9
	v_add_co_ci_u32_e64 v2, null, v6, v2, vcc_lo
	v_mov_b32_e32 v3, v2
; %bb.203:
	s_or_b32 exec_lo, exec_lo, s22
	ds_swizzle_b32 v4, v9 offset:swizzle(BROADCAST,32,15)
	ds_swizzle_b32 v3, v3 offset:swizzle(BROADCAST,32,15)
	v_and_b32_e32 v6, 16, v5
	s_mov_b32 s22, exec_lo
	v_cmpx_ne_u32_e32 0, v6
	s_cbranch_execz .LBB21_205
; %bb.204:
	s_waitcnt lgkmcnt(1)
	v_add_co_u32 v9, vcc_lo, v1, v4
	v_add_co_ci_u32_e64 v2, null, 0, v2, vcc_lo
	v_add_co_u32 v1, vcc_lo, 0, v9
	s_waitcnt lgkmcnt(0)
	v_add_co_ci_u32_e64 v2, null, v3, v2, vcc_lo
.LBB21_205:
	s_or_b32 exec_lo, exec_lo, s22
	s_waitcnt lgkmcnt(1)
	v_lshrrev_b32_e32 v4, 5, v0
	s_waitcnt lgkmcnt(0)
	v_or_b32_e32 v3, 31, v0
	s_mov_b32 s22, exec_lo
	v_lshlrev_b32_e32 v6, 3, v4
	v_cmpx_eq_u32_e64 v0, v3
; %bb.206:
	ds_write_b64 v6, v[1:2] offset:18432
; %bb.207:
	s_or_b32 exec_lo, exec_lo, s22
	s_mov_b32 s22, exec_lo
	s_waitcnt lgkmcnt(0)
	s_barrier
	buffer_gl0_inv
	v_cmpx_gt_u32_e32 8, v0
	s_cbranch_execz .LBB21_215
; %bb.208:
	v_lshlrev_b32_e32 v4, 3, v0
	v_and_b32_e32 v3, 7, v5
	s_mov_b32 s23, exec_lo
	ds_read_b64 v[1:2], v4 offset:18432
	s_waitcnt lgkmcnt(0)
	v_mov_b32_dpp v10, v1 row_shr:1 row_mask:0xf bank_mask:0xf
	v_mov_b32_dpp v8, v2 row_shr:1 row_mask:0xf bank_mask:0xf
	v_mov_b32_e32 v7, v1
	v_cmpx_ne_u32_e32 0, v3
; %bb.209:
	v_add_co_u32 v7, vcc_lo, v1, v10
	v_add_co_ci_u32_e64 v2, null, 0, v2, vcc_lo
	v_add_co_u32 v1, vcc_lo, 0, v7
	v_add_co_ci_u32_e64 v2, null, v8, v2, vcc_lo
; %bb.210:
	s_or_b32 exec_lo, exec_lo, s23
	v_mov_b32_dpp v10, v7 row_shr:2 row_mask:0xf bank_mask:0xf
	v_mov_b32_dpp v8, v2 row_shr:2 row_mask:0xf bank_mask:0xf
	s_mov_b32 s23, exec_lo
	v_cmpx_lt_u32_e32 1, v3
; %bb.211:
	v_add_co_u32 v7, vcc_lo, v1, v10
	v_add_co_ci_u32_e64 v2, null, 0, v2, vcc_lo
	v_add_co_u32 v1, vcc_lo, 0, v7
	v_add_co_ci_u32_e64 v2, null, v8, v2, vcc_lo
; %bb.212:
	s_or_b32 exec_lo, exec_lo, s23
	v_or_b32_e32 v4, 0x4800, v4
	v_mov_b32_dpp v8, v7 row_shr:4 row_mask:0xf bank_mask:0xf
	v_mov_b32_dpp v7, v2 row_shr:4 row_mask:0xf bank_mask:0xf
	s_mov_b32 s23, exec_lo
	v_cmpx_lt_u32_e32 3, v3
; %bb.213:
	v_add_co_u32 v1, vcc_lo, v1, v8
	v_add_co_ci_u32_e64 v2, null, 0, v2, vcc_lo
	v_add_co_u32 v1, vcc_lo, v1, 0
	v_add_co_ci_u32_e64 v2, null, v2, v7, vcc_lo
; %bb.214:
	s_or_b32 exec_lo, exec_lo, s23
	ds_write_b64 v4, v[1:2]
.LBB21_215:
	s_or_b32 exec_lo, exec_lo, s22
	v_mov_b32_e32 v1, 0
	v_mov_b32_e32 v2, 0
	s_mov_b32 s22, exec_lo
	v_mov_b32_e32 v3, 0
	v_mov_b32_e32 v4, 0
	s_waitcnt lgkmcnt(0)
	s_barrier
	buffer_gl0_inv
	v_cmpx_lt_u32_e32 31, v0
; %bb.216:
	ds_read_b64 v[3:4], v6 offset:18424
; %bb.217:
	s_or_b32 exec_lo, exec_lo, s22
	s_waitcnt lgkmcnt(0)
	v_sub_co_u32 v4, vcc_lo, v5, 1
	v_cmp_gt_i32_e64 s22, 0, v4
	v_cndmask_b32_e64 v4, v4, v5, s22
	v_add_nc_u32_e32 v5, v9, v3
	s_movk_i32 s22, 0x4838
	v_lshlrev_b32_e32 v4, 2, v4
	ds_bpermute_b32 v4, v4, v5
	s_waitcnt lgkmcnt(0)
	v_cndmask_b32_e32 v5, v4, v3, vcc_lo
.LBB21_218:
	v_mov_b32_e32 v3, s22
	s_waitcnt lgkmcnt(0)
	v_sub_nc_u32_e32 v5, v5, v1
	ds_read_b64 v[3:4], v3
	s_waitcnt lgkmcnt(0)
	s_barrier
	buffer_gl0_inv
	s_and_saveexec_b32 s22, s21
	s_cbranch_execnz .LBB21_264
; %bb.219:
	s_or_b32 exec_lo, exec_lo, s22
	s_and_saveexec_b32 s1, s20
	s_cbranch_execnz .LBB21_265
.LBB21_220:
	s_or_b32 exec_lo, exec_lo, s1
	s_and_saveexec_b32 s1, s19
	s_cbranch_execnz .LBB21_266
.LBB21_221:
	s_or_b32 exec_lo, exec_lo, s1
	s_and_saveexec_b32 s1, s18
	s_cbranch_execnz .LBB21_267
.LBB21_222:
	s_or_b32 exec_lo, exec_lo, s1
	s_and_saveexec_b32 s1, s17
	s_cbranch_execnz .LBB21_268
.LBB21_223:
	s_or_b32 exec_lo, exec_lo, s1
	s_and_saveexec_b32 s1, s16
	s_cbranch_execz .LBB21_225
.LBB21_224:
	v_cndmask_b32_e64 v6, v35, v36, s6
	v_lshlrev_b32_e32 v7, 2, v5
	v_add_nc_u32_e32 v5, 1, v5
	ds_write_b32 v7, v6 offset:19456
.LBB21_225:
	s_or_b32 exec_lo, exec_lo, s1
	v_and_b32_e32 v6, 64, v64
	s_mov_b32 s1, exec_lo
	v_cmpx_ne_u32_e32 0, v6
	s_cbranch_execz .LBB21_227
; %bb.226:
	v_cndmask_b32_e64 v6, v37, v38, s7
	v_lshlrev_b32_e32 v7, 2, v5
	v_add_nc_u32_e32 v5, 1, v5
	ds_write_b32 v7, v6 offset:19456
.LBB21_227:
	s_or_b32 exec_lo, exec_lo, s1
	v_and_b32_e32 v6, 0x80, v63
	s_mov_b32 s1, exec_lo
	v_cmpx_ne_u32_e32 0, v6
	s_cbranch_execz .LBB21_229
; %bb.228:
	v_cndmask_b32_e64 v6, v39, v40, s8
	v_lshlrev_b32_e32 v7, 2, v5
	v_add_nc_u32_e32 v5, 1, v5
	ds_write_b32 v7, v6 offset:19456
.LBB21_229:
	;; [unrolled: 11-line block ×9, first 2 shown]
	s_or_b32 exec_lo, exec_lo, s1
	v_and_b32_e32 v6, 0x8000, v59
	s_mov_b32 s2, exec_lo
	v_cmpx_ne_u32_e32 0, v6
	s_cbranch_execz .LBB21_245
; %bb.244:
	v_cmp_lt_i32_e32 vcc_lo, v57, v55
	v_cmp_lt_i32_e64 s1, v58, v24
	v_cmp_ge_i32_sdwa s3, v56, sext(v23) src0_sel:DWORD src1_sel:WORD_1
	v_lshlrev_b32_e32 v5, 2, v5
	s_and_b32 s1, s1, vcc_lo
	s_or_b32 vcc_lo, s3, s1
	v_cndmask_b32_e32 v6, v55, v57, vcc_lo
	ds_write_b32 v5, v6 offset:19456
.LBB21_245:
	s_or_b32 exec_lo, exec_lo, s2
	s_mov_b32 s2, exec_lo
	s_waitcnt lgkmcnt(0)
	s_barrier
	buffer_gl0_inv
	v_cmpx_lt_i32_e64 v0, v3
	s_cbranch_execz .LBB21_248
; %bb.246:
	v_lshlrev_b64 v[5:6], 2, v[1:2]
	v_or_b32_e32 v7, 0x4c00, v22
	v_mov_b32_e32 v8, v0
	s_mov_b32 s3, 0
	v_add_co_u32 v5, vcc_lo, s24, v5
	v_add_co_ci_u32_e64 v6, null, s25, v6, vcc_lo
	v_add_co_u32 v5, vcc_lo, v5, v22
	v_add_co_ci_u32_e64 v6, null, 0, v6, vcc_lo
	.p2align	6
.LBB21_247:                             ; =>This Inner Loop Header: Depth=1
	ds_read_b32 v9, v7
	v_add_nc_u32_e32 v8, 0x100, v8
	v_add_nc_u32_e32 v7, 0x400, v7
	v_cmp_ge_i32_e32 vcc_lo, v8, v3
	s_or_b32 s3, vcc_lo, s3
	s_waitcnt lgkmcnt(0)
	global_store_dword v[5:6], v9, off
	v_add_co_u32 v5, s1, 0x400, v5
	v_add_co_ci_u32_e64 v6, null, 0, v6, s1
	s_andn2_b32 exec_lo, exec_lo, s3
	s_cbranch_execnz .LBB21_247
.LBB21_248:
	s_or_b32 exec_lo, exec_lo, s2
	s_and_saveexec_b32 s1, s0
	s_cbranch_execz .LBB21_250
; %bb.249:
	v_add_co_u32 v1, vcc_lo, v3, v1
	v_mov_b32_e32 v5, 0
	v_add_co_ci_u32_e64 v2, null, v4, v2, vcc_lo
	global_store_dwordx2 v5, v[1:2], s[26:27]
.LBB21_250:
	s_or_b32 exec_lo, exec_lo, s1
	s_mov_b32 s0, 0
.LBB21_251:
	s_and_b32 vcc_lo, exec_lo, s0
	s_cbranch_vccz .LBB21_472
; %bb.252:
	v_mov_b32_e32 v1, 0
	v_subrev_nc_u32_e32 v2, s31, v0
	v_lshlrev_b32_e32 v4, 2, v0
	v_or_b32_e32 v11, 0x100, v0
	v_or_b32_e32 v12, 0x200, v0
	v_mov_b32_e32 v3, v1
	v_mov_b32_e32 v8, v1
	v_or_b32_e32 v23, 0x300, v0
	v_subrev_nc_u32_e32 v7, s31, v11
	v_or_b32_e32 v24, 0x500, v0
	v_lshlrev_b64 v[5:6], 2, v[2:3]
	v_add_co_u32 v2, vcc_lo, v20, v4
	v_add_co_ci_u32_e64 v3, null, 0, v21, vcc_lo
	v_or_b32_e32 v28, 0x800, v0
	v_add_co_u32 v9, vcc_lo, v18, v5
	v_add_co_ci_u32_e64 v10, null, v19, v6, vcc_lo
	v_cmp_gt_i32_e32 vcc_lo, s31, v0
	v_lshlrev_b64 v[5:6], 2, v[7:8]
	v_or_b32_e32 v29, 0xa00, v0
	v_cndmask_b32_e32 v8, v10, v3, vcc_lo
	v_cndmask_b32_e32 v7, v9, v2, vcc_lo
	v_subrev_nc_u32_e32 v9, s31, v12
	v_mov_b32_e32 v10, v1
	v_add_co_u32 v13, vcc_lo, 0x400, v2
	v_add_co_ci_u32_e64 v14, null, 0, v3, vcc_lo
	v_add_co_u32 v15, vcc_lo, v18, v5
	v_add_co_ci_u32_e64 v16, null, v19, v6, vcc_lo
	v_lshlrev_b64 v[5:6], 2, v[9:10]
	v_cmp_gt_i32_e32 vcc_lo, s31, v11
	v_add_co_u32 v11, s0, 0x800, v2
	v_add_co_ci_u32_e64 v22, null, 0, v3, s0
	v_add_co_u32 v5, s0, v18, v5
	v_add_co_ci_u32_e64 v6, null, v19, v6, s0
	v_cmp_gt_i32_e64 s0, s31, v12
	v_cndmask_b32_e32 v10, v16, v14, vcc_lo
	v_cndmask_b32_e32 v9, v15, v13, vcc_lo
	v_subrev_nc_u32_e32 v13, s31, v23
	v_mov_b32_e32 v14, v1
	v_cndmask_b32_e64 v12, v6, v22, s0
	v_cndmask_b32_e64 v11, v5, v11, s0
	global_load_dword v6, v[7:8], off
	global_load_dword v7, v[9:10], off
	;; [unrolled: 1-line block ×3, first 2 shown]
	v_or_b32_e32 v12, 0x400, v0
	v_lshlrev_b64 v[8:9], 2, v[13:14]
	v_mov_b32_e32 v11, v1
	v_add_co_u32 v13, vcc_lo, 0xc00, v2
	v_subrev_nc_u32_e32 v10, s31, v12
	v_add_co_ci_u32_e64 v14, null, 0, v3, vcc_lo
	v_add_co_u32 v16, vcc_lo, v18, v8
	v_lshlrev_b32_e32 v15, 2, v12
	v_add_co_ci_u32_e64 v22, null, v19, v9, vcc_lo
	v_lshlrev_b64 v[8:9], 2, v[10:11]
	v_cmp_gt_i32_e32 vcc_lo, s31, v23
	v_add_co_u32 v15, s0, v20, v15
	v_add_co_ci_u32_e64 v23, null, 0, v21, s0
	v_add_co_u32 v25, s0, v18, v8
	v_add_co_ci_u32_e64 v26, null, v19, v9, s0
	v_subrev_nc_u32_e32 v8, s31, v24
	v_mov_b32_e32 v9, v1
	v_cmp_gt_i32_e64 s0, s31, v12
	v_cndmask_b32_e32 v11, v22, v14, vcc_lo
	v_cndmask_b32_e32 v10, v16, v13, vcc_lo
	v_add_co_u32 v16, vcc_lo, 0x1400, v2
	v_lshlrev_b64 v[8:9], 2, v[8:9]
	v_cndmask_b32_e64 v13, v26, v23, s0
	v_or_b32_e32 v23, 0x600, v0
	v_cndmask_b32_e64 v12, v25, v15, s0
	v_add_co_ci_u32_e64 v22, null, 0, v3, vcc_lo
	v_add_co_u32 v25, vcc_lo, v18, v8
	v_add_co_ci_u32_e64 v26, null, v19, v9, vcc_lo
	v_cmp_gt_i32_e32 vcc_lo, s31, v24
	v_subrev_nc_u32_e32 v14, s31, v23
	v_mov_b32_e32 v15, v1
	global_load_dword v8, v[10:11], off
	global_load_dword v9, v[12:13], off
	v_cndmask_b32_e32 v10, v25, v16, vcc_lo
	v_or_b32_e32 v16, 0x700, v0
	v_lshlrev_b64 v[12:13], 2, v[14:15]
	v_cndmask_b32_e32 v11, v26, v22, vcc_lo
	v_add_co_u32 v22, vcc_lo, 0x1800, v2
	v_subrev_nc_u32_e32 v14, s31, v16
	v_add_co_ci_u32_e64 v24, null, 0, v3, vcc_lo
	v_add_co_u32 v25, vcc_lo, v18, v12
	v_add_co_ci_u32_e64 v26, null, v19, v13, vcc_lo
	v_lshlrev_b64 v[12:13], 2, v[14:15]
	v_add_co_u32 v14, s0, 0x1c00, v2
	v_cmp_gt_i32_e32 vcc_lo, s31, v23
	v_add_co_ci_u32_e64 v15, null, 0, v3, s0
	v_add_co_u32 v23, s0, v18, v12
	v_add_co_ci_u32_e64 v27, null, v19, v13, s0
	v_cmp_gt_i32_e64 s0, s31, v16
	v_cndmask_b32_e32 v12, v25, v22, vcc_lo
	v_subrev_nc_u32_e32 v22, s31, v28
	v_cndmask_b32_e32 v13, v26, v24, vcc_lo
	global_load_dword v10, v[10:11], off
	global_load_dword v11, v[12:13], off
	v_cndmask_b32_e64 v15, v27, v15, s0
	v_cndmask_b32_e64 v14, v23, v14, s0
	v_mov_b32_e32 v23, v1
	v_lshlrev_b32_e32 v16, 2, v28
	v_add_co_u32 v27, s0, 0x2400, v2
	global_load_dword v12, v[14:15], off
	v_lshlrev_b64 v[13:14], 2, v[22:23]
	v_or_b32_e32 v22, 0x900, v0
	v_add_co_u32 v23, vcc_lo, v20, v16
	v_mov_b32_e32 v16, v1
	v_add_co_ci_u32_e64 v24, null, 0, v21, vcc_lo
	v_subrev_nc_u32_e32 v15, s31, v22
	v_add_co_u32 v25, vcc_lo, v18, v13
	v_add_co_ci_u32_e64 v26, null, v19, v14, vcc_lo
	v_lshlrev_b64 v[13:14], 2, v[15:16]
	v_cmp_gt_i32_e32 vcc_lo, s31, v28
	v_add_co_ci_u32_e64 v28, null, 0, v3, s0
	v_add_co_u32 v30, s0, v18, v13
	v_add_co_ci_u32_e64 v31, null, v19, v14, s0
	v_subrev_nc_u32_e32 v13, s31, v29
	v_mov_b32_e32 v14, v1
	v_cmp_gt_i32_e64 s0, s31, v22
	v_cndmask_b32_e32 v16, v26, v24, vcc_lo
	v_cndmask_b32_e32 v15, v25, v23, vcc_lo
	v_add_co_u32 v26, vcc_lo, 0x2800, v2
	v_lshlrev_b64 v[13:14], 2, v[13:14]
	v_cndmask_b32_e64 v23, v31, v28, s0
	v_or_b32_e32 v28, 0xb00, v0
	v_cndmask_b32_e64 v22, v30, v27, s0
	v_add_co_ci_u32_e64 v27, null, 0, v3, vcc_lo
	v_add_co_u32 v30, vcc_lo, v18, v13
	v_add_co_ci_u32_e64 v31, null, v19, v14, vcc_lo
	v_cmp_gt_i32_e32 vcc_lo, s31, v29
	v_subrev_nc_u32_e32 v24, s31, v28
	v_mov_b32_e32 v25, v1
	global_load_dword v13, v[15:16], off
	global_load_dword v14, v[22:23], off
	v_cndmask_b32_e32 v15, v30, v26, vcc_lo
	v_or_b32_e32 v26, 0xc00, v0
	v_lshlrev_b64 v[22:23], 2, v[24:25]
	v_cndmask_b32_e32 v16, v31, v27, vcc_lo
	v_add_co_u32 v27, vcc_lo, 0x2c00, v2
	v_subrev_nc_u32_e32 v24, s31, v26
	v_add_co_ci_u32_e64 v29, null, 0, v3, vcc_lo
	v_lshlrev_b32_e32 v30, 2, v26
	v_add_co_u32 v31, vcc_lo, v18, v22
	v_add_co_ci_u32_e64 v32, null, v19, v23, vcc_lo
	v_cmp_gt_i32_e32 vcc_lo, s31, v28
	v_lshlrev_b64 v[22:23], 2, v[24:25]
	v_or_b32_e32 v28, 0xd00, v0
	v_add_co_u32 v24, s0, v20, v30
	v_add_co_ci_u32_e64 v25, null, 0, v21, s0
	v_subrev_nc_u32_e32 v20, s31, v28
	v_mov_b32_e32 v21, v1
	v_add_co_u32 v30, s0, v18, v22
	v_add_co_ci_u32_e64 v33, null, v19, v23, s0
	v_cndmask_b32_e32 v23, v32, v29, vcc_lo
	v_or_b32_e32 v29, 0xe00, v0
	v_lshlrev_b64 v[20:21], 2, v[20:21]
	v_cndmask_b32_e32 v22, v31, v27, vcc_lo
	v_cmp_gt_i32_e32 vcc_lo, s31, v26
	v_mov_b32_e32 v27, v1
	v_subrev_nc_u32_e32 v26, s31, v29
	v_add_co_u32 v31, s0, 0x3400, v2
	v_cndmask_b32_e32 v25, v33, v25, vcc_lo
	v_add_co_ci_u32_e64 v32, null, 0, v3, s0
	v_add_co_u32 v33, s0, v18, v20
	v_add_co_ci_u32_e64 v34, null, v19, v21, s0
	v_lshlrev_b64 v[20:21], 2, v[26:27]
	v_cmp_gt_i32_e64 s0, s31, v28
	v_add_co_u32 v28, s1, 0x3800, v2
	v_add_co_ci_u32_e64 v35, null, 0, v3, s1
	v_add_co_u32 v20, s1, v18, v20
	v_add_co_ci_u32_e64 v21, null, v19, v21, s1
	v_cmp_gt_i32_e64 s1, s31, v29
	v_cndmask_b32_e32 v24, v30, v24, vcc_lo
	v_cndmask_b32_e64 v27, v34, v32, s0
	v_cndmask_b32_e64 v26, v33, v31, s0
	s_mov_b32 s0, exec_lo
	v_cndmask_b32_e64 v29, v21, v35, s1
	v_cndmask_b32_e64 v28, v20, v28, s1
	global_load_dword v15, v[15:16], off
	global_load_dword v16, v[22:23], off
	;; [unrolled: 1-line block ×5, first 2 shown]
	v_or_b32_e32 v25, 0xf00, v0
	v_add_nc_u32_e32 v23, s31, v17
	v_mov_b32_e32 v24, 0
	v_cmpx_lt_i32_e64 v25, v23
	s_cbranch_execz .LBB21_254
; %bb.253:
	v_subrev_nc_u32_e32 v26, s31, v25
	v_mov_b32_e32 v27, 0
	v_add_co_u32 v2, vcc_lo, 0x3c00, v2
	v_add_co_ci_u32_e64 v3, null, 0, v3, vcc_lo
	v_lshlrev_b64 v[26:27], 2, v[26:27]
	v_add_co_u32 v18, vcc_lo, v18, v26
	v_add_co_ci_u32_e64 v19, null, v19, v27, vcc_lo
	v_cmp_gt_i32_e32 vcc_lo, s31, v25
	v_cndmask_b32_e32 v3, v19, v3, vcc_lo
	v_cndmask_b32_e32 v2, v18, v2, vcc_lo
	global_load_dword v24, v[2:3], off
.LBB21_254:
	s_or_b32 exec_lo, exec_lo, s0
	v_lshlrev_b32_e32 v2, 4, v0
	s_waitcnt vmcnt(13)
	ds_write2st64_b32 v4, v6, v7 offset0:4 offset1:8
	s_waitcnt vmcnt(11)
	ds_write2st64_b32 v4, v5, v8 offset0:12 offset1:16
	;; [unrolled: 2-line block ×5, first 2 shown]
	s_lshl_b32 s2, s31, 2
	s_mov_b32 s1, 0
	v_min_i32_e32 v3, v23, v2
	s_mov_b32 s0, exec_lo
	s_waitcnt vmcnt(3)
	ds_write2st64_b32 v4, v15, v16 offset0:44 offset1:48
	s_waitcnt vmcnt(1)
	ds_write2st64_b32 v4, v20, v21 offset0:52 offset1:56
	;; [unrolled: 2-line block ×3, first 2 shown]
	s_waitcnt lgkmcnt(0)
	s_waitcnt_vscnt null, 0x0
	s_barrier
	v_sub_nc_u32_e32 v2, v3, v17
	v_min_i32_e32 v5, s31, v3
	buffer_gl0_inv
	v_max_i32_e32 v2, 0, v2
	v_cmpx_lt_i32_e64 v2, v5
	s_cbranch_execz .LBB21_258
; %bb.255:
	v_lshlrev_b32_e32 v6, 2, v3
	v_add3_u32 v6, s2, v6, 0x400
	.p2align	6
.LBB21_256:                             ; =>This Inner Loop Header: Depth=1
	v_add_nc_u32_e32 v7, v5, v2
	v_lshrrev_b32_e32 v7, 1, v7
	v_not_b32_e32 v8, v7
	v_lshlrev_b32_e32 v9, 2, v7
	v_add_nc_u32_e32 v10, 1, v7
	v_lshl_add_u32 v8, v8, 2, v6
	ds_read_b32 v9, v9 offset:1024
	ds_read_b32 v8, v8
	s_waitcnt lgkmcnt(0)
	v_cmp_lt_i32_e32 vcc_lo, v8, v9
	v_cndmask_b32_e32 v5, v5, v7, vcc_lo
	v_cndmask_b32_e32 v2, v10, v2, vcc_lo
	v_cmp_ge_i32_e32 vcc_lo, v2, v5
	s_or_b32 s1, vcc_lo, s1
	s_andn2_b32 exec_lo, exec_lo, s1
	s_cbranch_execnz .LBB21_256
; %bb.257:
	s_or_b32 exec_lo, exec_lo, s1
.LBB21_258:
	s_or_b32 exec_lo, exec_lo, s0
	v_sub_nc_u32_e32 v8, v3, v2
	v_mov_b32_e32 v6, 0
	s_mov_b32 s1, exec_lo
	v_cmpx_lt_i32_e64 v8, v17
	s_cbranch_execz .LBB21_293
; %bb.259:
	v_lshl_add_u32 v6, v8, 2, s2
	v_mov_b32_e32 v5, 0
	v_mov_b32_e32 v9, 0
	s_mov_b32 s0, exec_lo
	ds_read_b32 v7, v6 offset:1024
	v_cmpx_lt_i32_e32 0, v2
	s_cbranch_execnz .LBB21_269
; %bb.260:
	s_or_b32 exec_lo, exec_lo, s0
	s_mov_b32 s0, exec_lo
	v_cmpx_lt_i32_e64 v5, v9
	s_cbranch_execnz .LBB21_270
.LBB21_261:
	s_or_b32 exec_lo, exec_lo, s0
	s_mov_b32 s0, exec_lo
	v_cmpx_lt_i32_e64 v5, v9
	s_cbranch_execnz .LBB21_271
.LBB21_262:
	s_or_b32 exec_lo, exec_lo, s0
	s_mov_b32 s0, exec_lo
	v_cmpx_lt_i32_e64 v5, v9
	s_cbranch_execnz .LBB21_272
.LBB21_263:
	s_or_b32 exec_lo, exec_lo, s0
	s_mov_b32 s0, exec_lo
	v_cmpx_lt_i32_e64 v5, v9
	s_cbranch_execnz .LBB21_273
	s_branch .LBB21_276
.LBB21_264:
	v_add_nc_u32_e32 v6, 1, v5
	v_cndmask_b32_e64 v7, v25, v26, s1
	v_lshlrev_b32_e32 v8, 2, v5
	v_mov_b32_e32 v5, v6
	ds_write_b32 v8, v7 offset:19456
	s_or_b32 exec_lo, exec_lo, s22
	s_and_saveexec_b32 s1, s20
	s_cbranch_execz .LBB21_220
.LBB21_265:
	v_cndmask_b32_e64 v6, v27, v28, s2
	v_lshlrev_b32_e32 v7, 2, v5
	v_add_nc_u32_e32 v5, 1, v5
	ds_write_b32 v7, v6 offset:19456
	s_or_b32 exec_lo, exec_lo, s1
	s_and_saveexec_b32 s1, s19
	s_cbranch_execz .LBB21_221
.LBB21_266:
	v_cndmask_b32_e64 v6, v29, v30, s3
	v_lshlrev_b32_e32 v7, 2, v5
	v_add_nc_u32_e32 v5, 1, v5
	ds_write_b32 v7, v6 offset:19456
	s_or_b32 exec_lo, exec_lo, s1
	s_and_saveexec_b32 s1, s18
	s_cbranch_execz .LBB21_222
.LBB21_267:
	v_cndmask_b32_e64 v6, v31, v32, s4
	v_lshlrev_b32_e32 v7, 2, v5
	v_add_nc_u32_e32 v5, 1, v5
	ds_write_b32 v7, v6 offset:19456
	s_or_b32 exec_lo, exec_lo, s1
	s_and_saveexec_b32 s1, s17
	s_cbranch_execz .LBB21_223
.LBB21_268:
	v_cndmask_b32_e64 v6, v33, v34, s5
	v_lshlrev_b32_e32 v7, 2, v5
	v_add_nc_u32_e32 v5, 1, v5
	ds_write_b32 v7, v6 offset:19456
	s_or_b32 exec_lo, exec_lo, s1
	s_and_saveexec_b32 s1, s16
	s_cbranch_execnz .LBB21_224
	s_branch .LBB21_225
.LBB21_269:
	v_mul_lo_u32 v5, 0x1ff, v2
	v_ashrrev_i32_e32 v9, 9, v5
	v_lshlrev_b32_e32 v5, 2, v9
	v_add_nc_u32_e32 v10, 1, v9
	ds_read_b32 v5, v5 offset:1024
	s_waitcnt lgkmcnt(0)
	v_cmp_lt_i32_e32 vcc_lo, v5, v7
	v_cndmask_b32_e32 v5, 0, v10, vcc_lo
	v_cndmask_b32_e32 v9, v9, v2, vcc_lo
	s_or_b32 exec_lo, exec_lo, s0
	s_mov_b32 s0, exec_lo
	v_cmpx_lt_i32_e64 v5, v9
	s_cbranch_execz .LBB21_261
.LBB21_270:
	v_sub_nc_u32_e32 v10, v5, v9
	v_lshl_add_u32 v10, v9, 7, v10
	v_ashrrev_i32_e32 v10, 7, v10
	v_lshlrev_b32_e32 v11, 2, v10
	v_add_nc_u32_e32 v12, 1, v10
	ds_read_b32 v11, v11 offset:1024
	s_waitcnt lgkmcnt(0)
	v_cmp_lt_i32_e32 vcc_lo, v11, v7
	v_cndmask_b32_e32 v5, v5, v12, vcc_lo
	v_cndmask_b32_e32 v9, v10, v9, vcc_lo
	s_or_b32 exec_lo, exec_lo, s0
	s_mov_b32 s0, exec_lo
	v_cmpx_lt_i32_e64 v5, v9
	s_cbranch_execz .LBB21_262
.LBB21_271:
	v_sub_nc_u32_e32 v10, v5, v9
	v_lshl_add_u32 v10, v9, 5, v10
	v_ashrrev_i32_e32 v10, 5, v10
	v_lshlrev_b32_e32 v11, 2, v10
	v_add_nc_u32_e32 v12, 1, v10
	ds_read_b32 v11, v11 offset:1024
	s_waitcnt lgkmcnt(0)
	v_cmp_lt_i32_e32 vcc_lo, v11, v7
	v_cndmask_b32_e32 v5, v5, v12, vcc_lo
	v_cndmask_b32_e32 v9, v10, v9, vcc_lo
	s_or_b32 exec_lo, exec_lo, s0
	s_mov_b32 s0, exec_lo
	v_cmpx_lt_i32_e64 v5, v9
	s_cbranch_execz .LBB21_263
.LBB21_272:
	v_sub_nc_u32_e32 v10, v5, v9
	v_lshl_add_u32 v10, v9, 4, v10
	v_ashrrev_i32_e32 v10, 4, v10
	v_lshlrev_b32_e32 v11, 2, v10
	v_add_nc_u32_e32 v12, 1, v10
	ds_read_b32 v11, v11 offset:1024
	s_waitcnt lgkmcnt(0)
	v_cmp_lt_i32_e32 vcc_lo, v11, v7
	v_cndmask_b32_e32 v5, v5, v12, vcc_lo
	v_cndmask_b32_e32 v9, v10, v9, vcc_lo
	s_or_b32 exec_lo, exec_lo, s0
	s_mov_b32 s0, exec_lo
	v_cmpx_lt_i32_e64 v5, v9
	s_cbranch_execz .LBB21_276
.LBB21_273:
	s_mov_b32 s3, 0
.LBB21_274:                             ; =>This Inner Loop Header: Depth=1
	v_sub_nc_u32_e32 v10, v5, v9
	v_lshl_add_u32 v10, v9, 1, v10
	v_ashrrev_i32_e32 v10, 1, v10
	v_lshlrev_b32_e32 v11, 2, v10
	v_add_nc_u32_e32 v12, 1, v10
	ds_read_b32 v11, v11 offset:1024
	s_waitcnt lgkmcnt(0)
	v_cmp_lt_i32_e32 vcc_lo, v11, v7
	v_cndmask_b32_e32 v5, v5, v12, vcc_lo
	v_cndmask_b32_e32 v9, v10, v9, vcc_lo
	v_cmp_ge_i32_e32 vcc_lo, v5, v9
	s_or_b32 s3, vcc_lo, s3
	s_andn2_b32 exec_lo, exec_lo, s3
	s_cbranch_execnz .LBB21_274
; %bb.275:
	s_or_b32 exec_lo, exec_lo, s3
.LBB21_276:
	s_or_b32 exec_lo, exec_lo, s0
	v_mov_b32_e32 v9, 0
	v_mov_b32_e32 v10, v8
	s_mov_b32 s0, exec_lo
	v_cmpx_lt_i32_e32 0, v8
	s_cbranch_execnz .LBB21_281
; %bb.277:
	s_or_b32 exec_lo, exec_lo, s0
	s_mov_b32 s0, exec_lo
	v_cmpx_lt_i32_e64 v9, v10
	s_cbranch_execnz .LBB21_282
.LBB21_278:
	s_or_b32 exec_lo, exec_lo, s0
	s_mov_b32 s0, exec_lo
	v_cmpx_lt_i32_e64 v9, v10
	s_cbranch_execnz .LBB21_283
.LBB21_279:
	s_or_b32 exec_lo, exec_lo, s0
	s_mov_b32 s0, exec_lo
	v_cmpx_lt_i32_e64 v9, v10
	s_cbranch_execnz .LBB21_284
.LBB21_280:
	s_or_b32 exec_lo, exec_lo, s0
	s_mov_b32 s0, exec_lo
	v_cmpx_lt_i32_e64 v9, v10
	s_cbranch_execnz .LBB21_285
	s_branch .LBB21_288
.LBB21_281:
	v_mul_lo_u32 v9, 0x1ff, v8
	v_lshrrev_b32_e32 v10, 9, v9
	v_lshl_add_u32 v9, v10, 2, s2
	v_add_nc_u32_e32 v11, 1, v10
	ds_read_b32 v9, v9 offset:1024
	s_waitcnt lgkmcnt(0)
	v_cmp_lt_i32_e32 vcc_lo, v9, v7
	v_cndmask_b32_e32 v9, 0, v11, vcc_lo
	v_cndmask_b32_e32 v10, v10, v8, vcc_lo
	s_or_b32 exec_lo, exec_lo, s0
	s_mov_b32 s0, exec_lo
	v_cmpx_lt_i32_e64 v9, v10
	s_cbranch_execz .LBB21_278
.LBB21_282:
	v_sub_nc_u32_e32 v11, v9, v10
	v_lshl_add_u32 v11, v10, 7, v11
	v_ashrrev_i32_e32 v11, 7, v11
	v_lshl_add_u32 v12, v11, 2, s2
	v_add_nc_u32_e32 v13, 1, v11
	ds_read_b32 v12, v12 offset:1024
	s_waitcnt lgkmcnt(0)
	v_cmp_lt_i32_e32 vcc_lo, v12, v7
	v_cndmask_b32_e32 v9, v9, v13, vcc_lo
	v_cndmask_b32_e32 v10, v11, v10, vcc_lo
	s_or_b32 exec_lo, exec_lo, s0
	s_mov_b32 s0, exec_lo
	v_cmpx_lt_i32_e64 v9, v10
	s_cbranch_execz .LBB21_279
.LBB21_283:
	v_sub_nc_u32_e32 v11, v9, v10
	v_lshl_add_u32 v11, v10, 5, v11
	v_ashrrev_i32_e32 v11, 5, v11
	v_lshl_add_u32 v12, v11, 2, s2
	v_add_nc_u32_e32 v13, 1, v11
	ds_read_b32 v12, v12 offset:1024
	s_waitcnt lgkmcnt(0)
	v_cmp_lt_i32_e32 vcc_lo, v12, v7
	v_cndmask_b32_e32 v9, v9, v13, vcc_lo
	v_cndmask_b32_e32 v10, v11, v10, vcc_lo
	s_or_b32 exec_lo, exec_lo, s0
	s_mov_b32 s0, exec_lo
	v_cmpx_lt_i32_e64 v9, v10
	s_cbranch_execz .LBB21_280
.LBB21_284:
	v_sub_nc_u32_e32 v11, v9, v10
	v_lshl_add_u32 v11, v10, 4, v11
	v_ashrrev_i32_e32 v11, 4, v11
	v_lshl_add_u32 v12, v11, 2, s2
	v_add_nc_u32_e32 v13, 1, v11
	ds_read_b32 v12, v12 offset:1024
	s_waitcnt lgkmcnt(0)
	v_cmp_lt_i32_e32 vcc_lo, v12, v7
	v_cndmask_b32_e32 v9, v9, v13, vcc_lo
	v_cndmask_b32_e32 v10, v11, v10, vcc_lo
	s_or_b32 exec_lo, exec_lo, s0
	s_mov_b32 s0, exec_lo
	v_cmpx_lt_i32_e64 v9, v10
	s_cbranch_execz .LBB21_288
.LBB21_285:
	s_mov_b32 s3, 0
.LBB21_286:                             ; =>This Inner Loop Header: Depth=1
	v_sub_nc_u32_e32 v11, v9, v10
	v_lshl_add_u32 v11, v10, 1, v11
	v_ashrrev_i32_e32 v11, 1, v11
	v_lshl_add_u32 v12, v11, 2, s2
	v_add_nc_u32_e32 v13, 1, v11
	ds_read_b32 v12, v12 offset:1024
	s_waitcnt lgkmcnt(0)
	v_cmp_lt_i32_e32 vcc_lo, v12, v7
	v_cndmask_b32_e32 v9, v9, v13, vcc_lo
	v_cndmask_b32_e32 v10, v11, v10, vcc_lo
	v_cmp_ge_i32_e32 vcc_lo, v9, v10
	s_or_b32 s3, vcc_lo, s3
	s_andn2_b32 exec_lo, exec_lo, s3
	s_cbranch_execnz .LBB21_286
; %bb.287:
	s_or_b32 exec_lo, exec_lo, s3
.LBB21_288:
	s_or_b32 exec_lo, exec_lo, s0
	v_sub_nc_u32_e32 v2, v2, v5
	v_sub_nc_u32_e32 v11, v8, v9
	s_mov_b32 s0, exec_lo
	v_add_nc_u32_e32 v10, v11, v2
	v_ashrrev_i32_e32 v2, 1, v10
	v_max_i32_e32 v2, v2, v11
	v_add3_u32 v9, v9, v2, 1
	v_min_i32_e32 v9, v9, v17
	v_sub_nc_u32_e32 v9, v9, v8
	v_mov_b32_e32 v8, 0
	v_cmpx_lt_i32_e32 0, v9
	s_cbranch_execz .LBB21_292
; %bb.289:
	v_mov_b32_e32 v8, 0
	s_mov_b32 s3, 0
.LBB21_290:                             ; =>This Inner Loop Header: Depth=1
	v_add_nc_u32_e32 v12, v8, v9
	v_lshrrev_b32_e32 v12, 1, v12
	v_lshl_add_u32 v13, v12, 2, v6
	v_add_nc_u32_e32 v14, 1, v12
	ds_read_b32 v13, v13 offset:1024
	s_waitcnt lgkmcnt(0)
	v_cmp_lt_i32_e32 vcc_lo, v7, v13
	v_cndmask_b32_e32 v8, v14, v8, vcc_lo
	v_cndmask_b32_e32 v9, v9, v12, vcc_lo
	v_cmp_ge_i32_e32 vcc_lo, v8, v9
	s_or_b32 s3, vcc_lo, s3
	s_andn2_b32 exec_lo, exec_lo, s3
	s_cbranch_execnz .LBB21_290
; %bb.291:
	s_or_b32 exec_lo, exec_lo, s3
.LBB21_292:
	s_or_b32 exec_lo, exec_lo, s0
	v_add_nc_u32_e32 v6, v8, v11
	s_waitcnt lgkmcnt(0)
	v_min_i32_e32 v7, v6, v2
	v_cmp_lt_i32_e32 vcc_lo, v2, v6
	v_sub_nc_u32_e32 v8, v10, v7
	v_add_nc_u32_e32 v7, 1, v7
	v_add_nc_u32_e32 v2, v8, v5
	v_cmp_eq_u32_e64 s0, v8, v7
	s_and_b32 s0, vcc_lo, s0
	v_cndmask_b32_e64 v6, 0, 1, s0
.LBB21_293:
	s_or_b32 exec_lo, exec_lo, s1
	v_add_nc_u32_e32 v3, v6, v3
	s_lshl_b32 s0, s31, 16
	v_sub_co_u32 v8, s1, v0, 1
	v_or_b32_e32 v6, s0, v17
	v_sub_nc_u32_e32 v5, v3, v2
	v_lshl_or_b32 v7, v2, 16, v5
	v_cndmask_b32_e64 v9, v7, v6, s1
	v_cndmask_b32_e64 v6, v8, 0xff, s1
	v_lshlrev_b32_e32 v7, 2, v2
	v_lshlrev_b32_e32 v8, 2, v6
	v_lshl_add_u32 v6, v5, 2, s2
	ds_write_b32 v8, v9
	s_waitcnt lgkmcnt(0)
	s_barrier
	buffer_gl0_inv
	ds_read_b32 v18, v4
	ds_read_b32 v20, v7 offset:1024
	ds_read_b32 v21, v6 offset:1024
	s_waitcnt lgkmcnt(2)
	v_cmp_le_i32_sdwa s2, sext(v18), v2 src0_sel:WORD_1 src1_sel:DWORD
	v_cmp_le_i32_sdwa s3, v18, v5 src0_sel:WORD_0 src1_sel:DWORD
	s_waitcnt lgkmcnt(0)
	v_cmp_lt_i32_e32 vcc_lo, v21, v20
	v_mov_b32_e32 v22, v20
	v_cndmask_b32_e64 v8, 0, 1, s2
	v_cndmask_b32_e64 v4, 0, 1, vcc_lo
	s_or_b32 vcc_lo, s2, s3
	v_cndmask_b32_e32 v4, v4, v8, vcc_lo
	v_and_b32_e32 v4, 1, v4
	v_cmp_eq_u32_e64 s0, 1, v4
	s_xor_b32 s5, s0, -1
	s_and_saveexec_b32 s4, s5
; %bb.294:
	ds_read_b32 v22, v7 offset:1028
	v_add_nc_u32_e32 v2, 1, v2
; %bb.295:
	s_or_b32 exec_lo, exec_lo, s4
	s_xor_b32 s4, s2, -1
	v_cmp_lt_i32_e64 s2, v20, v21
	v_mov_b32_e32 v23, v21
	v_cndmask_b32_e64 v4, 0, 1, s2
	s_and_b32 s2, s3, s4
	v_cndmask_b32_e64 v7, 0, 1, s2
	v_cndmask_b32_e32 v4, v4, v7, vcc_lo
	v_and_b32_e32 v4, 1, v4
	v_cmp_eq_u32_e32 vcc_lo, 1, v4
	v_add_nc_u32_e32 v4, s31, v5
	s_xor_b32 s3, vcc_lo, -1
	s_and_saveexec_b32 s2, s3
; %bb.296:
	ds_read_b32 v23, v6 offset:1028
	v_add_nc_u32_e32 v4, 1, v4
; %bb.297:
	s_or_b32 exec_lo, exec_lo, s2
	v_add_nc_u32_sdwa v19, v18, s31 dst_sel:DWORD dst_unused:UNUSED_PAD src0_sel:WORD_0 src1_sel:DWORD
	v_cmp_ge_i32_sdwa s4, v2, sext(v18) src0_sel:DWORD src1_sel:WORD_1
	s_waitcnt lgkmcnt(0)
	v_cmp_lt_i32_e64 s2, v23, v22
	v_mov_b32_e32 v24, v22
	v_cmp_ge_i32_e32 vcc_lo, v4, v19
	v_cndmask_b32_e64 v5, 0, 1, s4
	v_cndmask_b32_e64 v6, 0, 1, s2
	s_or_b32 s2, s4, vcc_lo
	v_cndmask_b32_e64 v5, v6, v5, s2
	v_and_b32_e32 v5, 1, v5
	v_cmp_eq_u32_e64 s2, 1, v5
	v_mov_b32_e32 v5, v2
	s_xor_b32 s5, s2, -1
	s_and_saveexec_b32 s3, s5
; %bb.298:
	v_lshlrev_b32_e32 v5, 2, v2
	ds_read_b32 v24, v5 offset:1028
	v_add_nc_u32_e32 v5, 1, v2
; %bb.299:
	s_or_b32 exec_lo, exec_lo, s3
	v_cmp_lt_i32_e64 s3, v22, v23
	s_xor_b32 s4, s4, -1
	v_mov_b32_e32 v25, v23
	v_mov_b32_e32 v6, v4
	s_or_b32 s3, vcc_lo, s3
	s_and_b32 s3, s4, s3
	s_xor_b32 s4, s3, -1
	s_and_saveexec_b32 s3, s4
; %bb.300:
	v_lshlrev_b32_e32 v6, 2, v4
	ds_read_b32 v25, v6 offset:1028
	v_add_nc_u32_e32 v6, 1, v4
; %bb.301:
	s_or_b32 exec_lo, exec_lo, s3
	v_cmp_ge_i32_sdwa s5, v5, sext(v18) src0_sel:DWORD src1_sel:WORD_1
	s_waitcnt lgkmcnt(0)
	v_cmp_lt_i32_e64 s3, v25, v24
	v_cmp_ge_i32_e32 vcc_lo, v6, v19
	v_mov_b32_e32 v26, v24
	v_cndmask_b32_e64 v7, 0, 1, s5
	v_cndmask_b32_e64 v8, 0, 1, s3
	s_or_b32 s3, s5, vcc_lo
	v_cndmask_b32_e64 v7, v8, v7, s3
	v_and_b32_e32 v7, 1, v7
	v_cmp_eq_u32_e64 s3, 1, v7
	v_mov_b32_e32 v7, v5
	s_xor_b32 s6, s3, -1
	s_and_saveexec_b32 s4, s6
; %bb.302:
	v_lshlrev_b32_e32 v7, 2, v5
	ds_read_b32 v26, v7 offset:1028
	v_add_nc_u32_e32 v7, 1, v5
; %bb.303:
	s_or_b32 exec_lo, exec_lo, s4
	v_cmp_lt_i32_e64 s4, v24, v25
	s_xor_b32 s5, s5, -1
	v_mov_b32_e32 v27, v25
	v_mov_b32_e32 v8, v6
	s_or_b32 s4, vcc_lo, s4
	s_and_b32 s4, s5, s4
	s_xor_b32 s5, s4, -1
	s_and_saveexec_b32 s4, s5
; %bb.304:
	v_lshlrev_b32_e32 v8, 2, v6
	ds_read_b32 v27, v8 offset:1028
	v_add_nc_u32_e32 v8, 1, v6
; %bb.305:
	s_or_b32 exec_lo, exec_lo, s4
	v_cmp_ge_i32_sdwa s6, v7, sext(v18) src0_sel:DWORD src1_sel:WORD_1
	s_waitcnt lgkmcnt(0)
	v_cmp_lt_i32_e64 s4, v27, v26
	v_cmp_ge_i32_e32 vcc_lo, v8, v19
	v_mov_b32_e32 v28, v26
	;; [unrolled: 34-line block ×5, first 2 shown]
	v_cndmask_b32_e64 v15, 0, 1, s9
	v_cndmask_b32_e64 v16, 0, 1, s7
	s_or_b32 s7, s9, vcc_lo
	v_cndmask_b32_e64 v15, v16, v15, s7
	v_and_b32_e32 v15, 1, v15
	v_cmp_eq_u32_e64 s7, 1, v15
	v_mov_b32_e32 v15, v13
	s_xor_b32 s10, s7, -1
	s_and_saveexec_b32 s8, s10
; %bb.318:
	v_lshlrev_b32_e32 v15, 2, v13
	ds_read_b32 v34, v15 offset:1028
	v_add_nc_u32_e32 v15, 1, v13
; %bb.319:
	s_or_b32 exec_lo, exec_lo, s8
	v_cmp_lt_i32_e64 s8, v32, v33
	s_xor_b32 s9, s9, -1
	v_mov_b32_e32 v35, v33
	v_mov_b32_e32 v17, v14
	s_or_b32 s8, vcc_lo, s8
	s_and_b32 s8, s9, s8
	s_xor_b32 s9, s8, -1
	s_and_saveexec_b32 s8, s9
; %bb.320:
	v_lshlrev_b32_e32 v16, 2, v14
	v_add_nc_u32_e32 v17, 1, v14
	ds_read_b32 v35, v16 offset:1028
; %bb.321:
	s_or_b32 exec_lo, exec_lo, s8
	v_cmp_ge_i32_sdwa s10, v15, sext(v18) src0_sel:DWORD src1_sel:WORD_1
	s_waitcnt lgkmcnt(0)
	v_cmp_lt_i32_e64 s8, v35, v34
	v_cmp_ge_i32_e32 vcc_lo, v17, v19
	v_cndmask_b32_e64 v16, 0, 1, s10
	v_cndmask_b32_e64 v36, 0, 1, s8
	s_or_b32 s8, s10, vcc_lo
	v_cndmask_b32_e64 v16, v36, v16, s8
	v_mov_b32_e32 v36, v34
	v_and_b32_e32 v16, 1, v16
	v_cmp_eq_u32_e64 s8, 1, v16
	v_mov_b32_e32 v16, v15
	s_xor_b32 s11, s8, -1
	s_and_saveexec_b32 s9, s11
; %bb.322:
	v_lshlrev_b32_e32 v16, 2, v15
	ds_read_b32 v36, v16 offset:1028
	v_add_nc_u32_e32 v16, 1, v15
; %bb.323:
	s_or_b32 exec_lo, exec_lo, s9
	v_cmp_lt_i32_e64 s9, v34, v35
	s_xor_b32 s10, s10, -1
	v_mov_b32_e32 v37, v35
	v_mov_b32_e32 v54, v17
	s_or_b32 s9, vcc_lo, s9
	s_and_b32 s9, s10, s9
	s_xor_b32 s10, s9, -1
	s_and_saveexec_b32 s9, s10
; %bb.324:
	v_lshlrev_b32_e32 v37, 2, v17
	v_add_nc_u32_e32 v54, 1, v17
	ds_read_b32 v37, v37 offset:1028
; %bb.325:
	s_or_b32 exec_lo, exec_lo, s9
	v_cmp_ge_i32_sdwa s11, v16, sext(v18) src0_sel:DWORD src1_sel:WORD_1
	s_waitcnt lgkmcnt(0)
	v_cmp_lt_i32_e64 s9, v37, v36
	v_cmp_ge_i32_e32 vcc_lo, v54, v19
	v_mov_b32_e32 v55, v16
	v_cndmask_b32_e64 v38, 0, 1, s11
	v_cndmask_b32_e64 v39, 0, 1, s9
	s_or_b32 s9, s11, vcc_lo
	v_cndmask_b32_e64 v38, v39, v38, s9
	v_and_b32_e32 v38, 1, v38
	v_cmp_eq_u32_e64 s9, 1, v38
	v_mov_b32_e32 v38, v36
	s_xor_b32 s12, s9, -1
	s_and_saveexec_b32 s10, s12
; %bb.326:
	v_lshlrev_b32_e32 v38, 2, v16
	v_add_nc_u32_e32 v55, 1, v16
	ds_read_b32 v38, v38 offset:1028
; %bb.327:
	s_or_b32 exec_lo, exec_lo, s10
	v_cmp_lt_i32_e64 s10, v36, v37
	s_xor_b32 s11, s11, -1
	v_mov_b32_e32 v39, v37
	v_mov_b32_e32 v56, v54
	s_or_b32 s10, vcc_lo, s10
	s_and_b32 s10, s11, s10
	s_xor_b32 s11, s10, -1
	s_and_saveexec_b32 s10, s11
; %bb.328:
	v_lshlrev_b32_e32 v39, 2, v54
	v_add_nc_u32_e32 v56, 1, v54
	ds_read_b32 v39, v39 offset:1028
; %bb.329:
	s_or_b32 exec_lo, exec_lo, s10
	v_cmp_ge_i32_sdwa s12, v55, sext(v18) src0_sel:DWORD src1_sel:WORD_1
	s_waitcnt lgkmcnt(0)
	v_cmp_lt_i32_e64 s10, v39, v38
	v_cmp_ge_i32_e32 vcc_lo, v56, v19
	v_mov_b32_e32 v57, v55
	v_cndmask_b32_e64 v40, 0, 1, s12
	v_cndmask_b32_e64 v41, 0, 1, s10
	s_or_b32 s10, s12, vcc_lo
	v_cndmask_b32_e64 v40, v41, v40, s10
	v_and_b32_e32 v40, 1, v40
	v_cmp_eq_u32_e64 s10, 1, v40
	v_mov_b32_e32 v40, v38
	s_xor_b32 s13, s10, -1
	s_and_saveexec_b32 s11, s13
; %bb.330:
	v_lshlrev_b32_e32 v40, 2, v55
	v_add_nc_u32_e32 v57, 1, v55
	ds_read_b32 v40, v40 offset:1028
	;; [unrolled: 34-line block ×6, first 2 shown]
; %bb.347:
	s_or_b32 exec_lo, exec_lo, s15
	v_cmp_lt_i32_e64 s15, v46, v47
	s_xor_b32 s16, s16, -1
	v_mov_b32_e32 v49, v47
	v_mov_b32_e32 v66, v64
	s_or_b32 s15, vcc_lo, s15
	s_and_b32 s15, s16, s15
	s_xor_b32 s16, s15, -1
	s_and_saveexec_b32 s15, s16
; %bb.348:
	v_lshlrev_b32_e32 v49, 2, v64
	v_add_nc_u32_e32 v66, 1, v64
	ds_read_b32 v49, v49 offset:1028
; %bb.349:
	s_or_b32 exec_lo, exec_lo, s15
	v_cmp_ge_i32_sdwa s17, v65, sext(v18) src0_sel:DWORD src1_sel:WORD_1
	s_waitcnt lgkmcnt(0)
	v_cmp_lt_i32_e64 s15, v49, v48
	v_cmp_ge_i32_e32 vcc_lo, v66, v19
	v_cndmask_b32_e64 v50, 0, 1, s17
	v_cndmask_b32_e64 v51, 0, 1, s15
	s_or_b32 s15, s17, vcc_lo
	v_cndmask_b32_e64 v50, v51, v50, s15
	v_mov_b32_e32 v51, v65
	v_and_b32_e32 v50, 1, v50
	v_cmp_eq_u32_e64 s15, 1, v50
	v_mov_b32_e32 v50, v48
	s_xor_b32 s18, s15, -1
	s_and_saveexec_b32 s16, s18
; %bb.350:
	v_lshlrev_b32_e32 v50, 2, v65
	v_add_nc_u32_e32 v51, 1, v65
	ds_read_b32 v50, v50 offset:1028
; %bb.351:
	s_or_b32 exec_lo, exec_lo, s16
	v_cmp_lt_i32_e64 s16, v48, v49
	s_xor_b32 s17, s17, -1
	v_mov_b32_e32 v52, v49
	v_mov_b32_e32 v53, v66
	s_or_b32 s16, vcc_lo, s16
	s_and_b32 s16, s17, s16
	s_xor_b32 s17, s16, -1
	s_and_saveexec_b32 s16, s17
; %bb.352:
	v_lshlrev_b32_e32 v52, 2, v66
	v_add_nc_u32_e32 v53, 1, v66
	ds_read_b32 v52, v52 offset:1028
; %bb.353:
	s_or_b32 exec_lo, exec_lo, s16
	v_add_nc_u32_sdwa v68, v19, sext(v18) dst_sel:DWORD dst_unused:UNUSED_PAD src0_sel:DWORD src1_sel:WORD_1
	v_add_nc_u32_e32 v5, v6, v5
	v_add_nc_u32_e32 v2, v4, v2
	v_add_nc_u32_e32 v3, s31, v3
	v_add_nc_u32_e32 v6, v10, v9
	v_add_nc_u32_e32 v4, v8, v7
	v_cmp_lt_i32_e64 s19, v5, v68
	v_cmp_lt_i32_e64 s20, v2, v68
	;; [unrolled: 1-line block ×3, first 2 shown]
	v_add_nc_u32_e32 v13, v14, v13
	v_cmp_lt_i32_e64 s17, v6, v68
	v_cndmask_b32_e64 v5, 0, 4, s19
	v_cndmask_b32_e64 v2, 0, 2, s20
	;; [unrolled: 1-line block ×3, first 2 shown]
	v_cmp_lt_i32_e64 s18, v4, v68
	v_add_nc_u32_e32 v15, v17, v15
	v_add_nc_u32_e32 v11, v12, v11
	v_cndmask_b32_e64 v6, 0, 16, s17
	v_or3_b32 v2, v2, v3, v5
	v_cndmask_b32_e64 v4, 0, 8, s18
	v_cmp_lt_i32_e32 vcc_lo, v13, v68
	v_cmp_lt_i32_e64 s16, v11, v68
	v_add_nc_u32_e32 v60, v60, v59
	v_add_nc_u32_e32 v57, v58, v57
	v_or3_b32 v2, v2, v4, v6
	v_cndmask_b32_e64 v3, 0, 64, vcc_lo
	v_add_nc_u32_e32 v4, v56, v55
	v_cmp_lt_i32_e32 vcc_lo, v15, v68
	v_cndmask_b32_e64 v5, 0, 32, s16
	v_add_nc_u32_e32 v6, v54, v16
	v_add_nc_u32_e32 v63, v64, v63
	;; [unrolled: 1-line block ×3, first 2 shown]
	v_cndmask_b32_e64 v7, 0, 0x80, vcc_lo
	v_cmp_lt_i32_e32 vcc_lo, v4, v68
	v_or3_b32 v59, v2, v5, v3
	v_add_nc_u32_e32 v67, v53, v51
	v_add_nc_u32_e32 v65, v66, v65
	v_mov_b32_e32 v11, 0
	v_cndmask_b32_e64 v2, 0, 0x200, vcc_lo
	v_cmp_lt_i32_e32 vcc_lo, v6, v68
	v_or_b32_e32 v58, v7, v59
	s_cmp_lg_u32 s30, 0
	s_waitcnt lgkmcnt(0)
	s_barrier
	v_cndmask_b32_e64 v3, 0, 0x100, vcc_lo
	v_cmp_lt_i32_e32 vcc_lo, v60, v68
	v_mbcnt_lo_u32_b32 v60, -1, 0
	buffer_gl0_inv
	v_cndmask_b32_e64 v4, 0, 0x800, vcc_lo
	v_cmp_lt_i32_e32 vcc_lo, v57, v68
	v_or3_b32 v57, v3, v2, v58
	v_cndmask_b32_e64 v5, 0, 0x400, vcc_lo
	v_cmp_lt_i32_e32 vcc_lo, v63, v68
	v_or3_b32 v56, v5, v4, v57
	v_cndmask_b32_e64 v2, 0, 0x2000, vcc_lo
	v_cmp_lt_i32_e32 vcc_lo, v61, v68
	v_cndmask_b32_e64 v3, 0, 0x1000, vcc_lo
	v_cmp_lt_i32_e32 vcc_lo, v67, v68
	v_or3_b32 v55, v3, v2, v56
	v_cndmask_b32_e64 v4, 0, 0x8000, vcc_lo
	v_cmp_lt_i32_e32 vcc_lo, v65, v68
	v_cndmask_b32_e64 v5, 0, 0x4000, vcc_lo
	v_or3_b32 v54, v5, v4, v55
	v_bcnt_u32_b32 v10, v54, 0
	s_cbranch_scc0 .LBB21_411
; %bb.354:
	v_mov_b32_e32 v2, v10
	v_and_b32_e32 v6, 15, v60
	v_mov_b32_dpp v8, v10 row_shr:1 row_mask:0xf bank_mask:0xf
	v_mov_b32_dpp v7, v11 row_shr:1 row_mask:0xf bank_mask:0xf
	v_mov_b32_e32 v5, v10
	v_mov_b32_e32 v4, v11
	;; [unrolled: 1-line block ×3, first 2 shown]
	s_mov_b32 s22, exec_lo
	v_cmpx_ne_u32_e32 0, v6
; %bb.355:
	v_add_co_u32 v5, s23, v8, v10
	v_add_co_ci_u32_e64 v2, null, 0, 0, s23
	v_add_co_u32 v3, vcc_lo, 0, v5
	v_add_co_ci_u32_e64 v4, null, v7, v2, vcc_lo
	v_mov_b32_e32 v2, v3
	v_mov_b32_e32 v3, v4
; %bb.356:
	s_or_b32 exec_lo, exec_lo, s22
	v_mov_b32_dpp v8, v5 row_shr:2 row_mask:0xf bank_mask:0xf
	v_mov_b32_dpp v7, v4 row_shr:2 row_mask:0xf bank_mask:0xf
	s_mov_b32 s22, exec_lo
	v_cmpx_lt_u32_e32 1, v6
; %bb.357:
	v_add_co_u32 v5, vcc_lo, v2, v8
	v_add_co_ci_u32_e64 v2, null, 0, v3, vcc_lo
	v_add_co_u32 v3, vcc_lo, 0, v5
	v_add_co_ci_u32_e64 v4, null, v7, v2, vcc_lo
	v_mov_b32_e32 v2, v3
	v_mov_b32_e32 v3, v4
; %bb.358:
	s_or_b32 exec_lo, exec_lo, s22
	v_mov_b32_dpp v8, v5 row_shr:4 row_mask:0xf bank_mask:0xf
	v_mov_b32_dpp v7, v4 row_shr:4 row_mask:0xf bank_mask:0xf
	s_mov_b32 s22, exec_lo
	v_cmpx_lt_u32_e32 3, v6
; %bb.359:
	v_add_co_u32 v5, vcc_lo, v2, v8
	v_add_co_ci_u32_e64 v2, null, 0, v3, vcc_lo
	;; [unrolled: 13-line block ×3, first 2 shown]
	v_add_co_u32 v2, vcc_lo, 0, v5
	v_add_co_ci_u32_e64 v3, null, v7, v3, vcc_lo
	v_mov_b32_e32 v4, v3
; %bb.362:
	s_or_b32 exec_lo, exec_lo, s22
	ds_swizzle_b32 v6, v5 offset:swizzle(BROADCAST,32,15)
	ds_swizzle_b32 v4, v4 offset:swizzle(BROADCAST,32,15)
	v_and_b32_e32 v7, 16, v60
	s_mov_b32 s22, exec_lo
	v_cmpx_ne_u32_e32 0, v7
	s_cbranch_execz .LBB21_364
; %bb.363:
	s_waitcnt lgkmcnt(1)
	v_add_co_u32 v5, vcc_lo, v2, v6
	v_add_co_ci_u32_e64 v3, null, 0, v3, vcc_lo
	v_add_co_u32 v2, vcc_lo, 0, v5
	s_waitcnt lgkmcnt(0)
	v_add_co_ci_u32_e64 v3, null, v4, v3, vcc_lo
.LBB21_364:
	s_or_b32 exec_lo, exec_lo, s22
	s_waitcnt lgkmcnt(1)
	v_or_b32_e32 v6, 31, v0
	s_waitcnt lgkmcnt(0)
	v_lshrrev_b32_e32 v4, 5, v0
	s_mov_b32 s22, exec_lo
	v_cmpx_eq_u32_e64 v0, v6
; %bb.365:
	v_lshlrev_b32_e32 v6, 3, v4
	ds_write_b64 v6, v[2:3]
; %bb.366:
	s_or_b32 exec_lo, exec_lo, s22
	s_mov_b32 s22, exec_lo
	s_waitcnt lgkmcnt(0)
	s_barrier
	buffer_gl0_inv
	v_cmpx_gt_u32_e32 8, v0
	s_cbranch_execz .LBB21_374
; %bb.367:
	v_lshlrev_b32_e32 v6, 3, v0
	v_and_b32_e32 v7, 7, v60
	s_mov_b32 s23, exec_lo
	ds_read_b64 v[2:3], v6
	s_waitcnt lgkmcnt(0)
	v_mov_b32_dpp v12, v2 row_shr:1 row_mask:0xf bank_mask:0xf
	v_mov_b32_dpp v9, v3 row_shr:1 row_mask:0xf bank_mask:0xf
	v_mov_b32_e32 v8, v2
	v_cmpx_ne_u32_e32 0, v7
; %bb.368:
	v_add_co_u32 v8, vcc_lo, v2, v12
	v_add_co_ci_u32_e64 v3, null, 0, v3, vcc_lo
	v_add_co_u32 v2, vcc_lo, 0, v8
	v_add_co_ci_u32_e64 v3, null, v9, v3, vcc_lo
; %bb.369:
	s_or_b32 exec_lo, exec_lo, s23
	v_mov_b32_dpp v12, v8 row_shr:2 row_mask:0xf bank_mask:0xf
	v_mov_b32_dpp v9, v3 row_shr:2 row_mask:0xf bank_mask:0xf
	s_mov_b32 s23, exec_lo
	v_cmpx_lt_u32_e32 1, v7
; %bb.370:
	v_add_co_u32 v8, vcc_lo, v2, v12
	v_add_co_ci_u32_e64 v3, null, 0, v3, vcc_lo
	v_add_co_u32 v2, vcc_lo, 0, v8
	v_add_co_ci_u32_e64 v3, null, v9, v3, vcc_lo
; %bb.371:
	s_or_b32 exec_lo, exec_lo, s23
	v_mov_b32_dpp v9, v8 row_shr:4 row_mask:0xf bank_mask:0xf
	v_mov_b32_dpp v8, v3 row_shr:4 row_mask:0xf bank_mask:0xf
	s_mov_b32 s23, exec_lo
	v_cmpx_lt_u32_e32 3, v7
; %bb.372:
	v_add_co_u32 v2, vcc_lo, v2, v9
	v_add_co_ci_u32_e64 v3, null, 0, v3, vcc_lo
	v_add_co_u32 v2, vcc_lo, v2, 0
	v_add_co_ci_u32_e64 v3, null, v3, v8, vcc_lo
; %bb.373:
	s_or_b32 exec_lo, exec_lo, s23
	ds_write_b64 v6, v[2:3]
.LBB21_374:
	s_or_b32 exec_lo, exec_lo, s22
	s_mov_b32 s23, exec_lo
	v_cmp_gt_u32_e32 vcc_lo, 32, v0
	s_waitcnt lgkmcnt(0)
	s_barrier
	buffer_gl0_inv
                                        ; implicit-def: $vgpr12_vgpr13
	v_cmpx_lt_u32_e32 31, v0
	s_cbranch_execz .LBB21_376
; %bb.375:
	v_lshl_add_u32 v2, v4, 3, -8
	ds_read_b64 v[12:13], v2
	s_waitcnt lgkmcnt(0)
	v_add_nc_u32_e32 v5, v5, v12
.LBB21_376:
	s_or_b32 exec_lo, exec_lo, s23
	v_sub_co_u32 v2, s22, v60, 1
	v_cmp_gt_i32_e64 s23, 0, v2
	v_cndmask_b32_e64 v2, v2, v60, s23
	v_lshlrev_b32_e32 v2, 2, v2
	ds_bpermute_b32 v61, v2, v5
	s_and_saveexec_b32 s23, vcc_lo
	s_cbranch_execz .LBB21_416
; %bb.377:
	v_mov_b32_e32 v5, 0
	ds_read_b64 v[2:3], v5 offset:56
	s_and_saveexec_b32 s26, s22
	s_cbranch_execz .LBB21_379
; %bb.378:
	s_add_i32 s34, s30, 32
	s_mov_b32 s35, 0
	v_mov_b32_e32 v4, 1
	s_lshl_b64 s[34:35], s[34:35], 4
	s_add_u32 s34, s28, s34
	s_addc_u32 s35, s29, s35
	v_mov_b32_e32 v6, s34
	v_mov_b32_e32 v7, s35
	s_waitcnt lgkmcnt(0)
	;;#ASMSTART
	global_store_dwordx4 v[6:7], v[2:5] off	
s_waitcnt vmcnt(0)
	;;#ASMEND
.LBB21_379:
	s_or_b32 exec_lo, exec_lo, s26
	v_xad_u32 v14, v60, -1, s30
	s_mov_b32 s27, 0
	v_add_nc_u32_e32 v4, 32, v14
	v_lshlrev_b64 v[6:7], 4, v[4:5]
	v_add_co_u32 v15, vcc_lo, s28, v6
	v_add_co_ci_u32_e64 v16, null, s29, v7, vcc_lo
	;;#ASMSTART
	global_load_dwordx4 v[6:9], v[15:16] off glc dlc	
s_waitcnt vmcnt(0)
	;;#ASMEND
	v_cmp_eq_u16_sdwa s31, v8, v5 src0_sel:BYTE_0 src1_sel:DWORD
	s_and_saveexec_b32 s26, s31
	s_cbranch_execz .LBB21_383
; %bb.380:
	v_mov_b32_e32 v4, 0
.LBB21_381:                             ; =>This Inner Loop Header: Depth=1
	;;#ASMSTART
	global_load_dwordx4 v[6:9], v[15:16] off glc dlc	
s_waitcnt vmcnt(0)
	;;#ASMEND
	v_cmp_ne_u16_sdwa s31, v8, v4 src0_sel:BYTE_0 src1_sel:DWORD
	s_or_b32 s27, s31, s27
	s_andn2_b32 exec_lo, exec_lo, s27
	s_cbranch_execnz .LBB21_381
; %bb.382:
	s_or_b32 exec_lo, exec_lo, s27
.LBB21_383:
	s_or_b32 exec_lo, exec_lo, s26
	v_cmp_ne_u32_e32 vcc_lo, 31, v60
	v_mov_b32_e32 v5, 2
	v_lshlrev_b32_e64 v63, v60, -1
	v_add_co_ci_u32_e64 v4, null, 0, v60, vcc_lo
	v_cmp_eq_u16_sdwa s26, v8, v5 src0_sel:BYTE_0 src1_sel:DWORD
	v_mov_b32_e32 v5, v6
	v_lshlrev_b32_e32 v62, 2, v4
	v_and_or_b32 v4, s26, v63, 0x80000000
	s_mov_b32 s26, exec_lo
	ds_bpermute_b32 v15, v62, v6
	ds_bpermute_b32 v9, v62, v7
	v_ffbl_b32_e32 v4, v4
	v_cmpx_lt_u32_e64 v60, v4
	s_cbranch_execz .LBB21_385
; %bb.384:
	s_waitcnt lgkmcnt(1)
	v_add_co_u32 v5, vcc_lo, v6, v15
	v_add_co_ci_u32_e64 v7, null, 0, v7, vcc_lo
	v_add_co_u32 v6, vcc_lo, 0, v5
	s_waitcnt lgkmcnt(0)
	v_add_co_ci_u32_e64 v7, null, v9, v7, vcc_lo
.LBB21_385:
	s_or_b32 exec_lo, exec_lo, s26
	v_cmp_gt_u32_e32 vcc_lo, 30, v60
	v_add_nc_u32_e32 v65, 2, v60
	s_mov_b32 s26, exec_lo
	s_waitcnt lgkmcnt(0)
	v_cndmask_b32_e64 v9, 0, 2, vcc_lo
	v_add_lshl_u32 v64, v9, v60, 2
	ds_bpermute_b32 v15, v64, v5
	ds_bpermute_b32 v9, v64, v7
	v_cmpx_le_u32_e64 v65, v4
	s_cbranch_execz .LBB21_387
; %bb.386:
	s_waitcnt lgkmcnt(1)
	v_add_co_u32 v5, vcc_lo, v6, v15
	v_add_co_ci_u32_e64 v7, null, 0, v7, vcc_lo
	v_add_co_u32 v6, vcc_lo, 0, v5
	s_waitcnt lgkmcnt(0)
	v_add_co_ci_u32_e64 v7, null, v9, v7, vcc_lo
.LBB21_387:
	s_or_b32 exec_lo, exec_lo, s26
	v_cmp_gt_u32_e32 vcc_lo, 28, v60
	v_add_nc_u32_e32 v67, 4, v60
	s_mov_b32 s26, exec_lo
	s_waitcnt lgkmcnt(0)
	v_cndmask_b32_e64 v9, 0, 4, vcc_lo
	v_add_lshl_u32 v66, v9, v60, 2
	ds_bpermute_b32 v15, v66, v5
	ds_bpermute_b32 v9, v66, v7
	v_cmpx_le_u32_e64 v67, v4
	;; [unrolled: 19-line block ×3, first 2 shown]
	s_cbranch_execz .LBB21_391
; %bb.390:
	s_waitcnt lgkmcnt(1)
	v_add_co_u32 v5, vcc_lo, v6, v15
	v_add_co_ci_u32_e64 v7, null, 0, v7, vcc_lo
	v_add_co_u32 v6, vcc_lo, 0, v5
	s_waitcnt lgkmcnt(0)
	v_add_co_ci_u32_e64 v7, null, v9, v7, vcc_lo
.LBB21_391:
	s_or_b32 exec_lo, exec_lo, s26
	v_lshl_or_b32 v70, v60, 2, 64
	v_add_nc_u32_e32 v71, 16, v60
	s_mov_b32 s26, exec_lo
	s_waitcnt lgkmcnt(0)
	ds_bpermute_b32 v9, v70, v5
	ds_bpermute_b32 v5, v70, v7
	v_cmpx_le_u32_e64 v71, v4
	s_cbranch_execz .LBB21_393
; %bb.392:
	s_waitcnt lgkmcnt(1)
	v_add_co_u32 v4, vcc_lo, v6, v9
	v_add_co_ci_u32_e64 v7, null, 0, v7, vcc_lo
	v_add_co_u32 v6, vcc_lo, v4, 0
	s_waitcnt lgkmcnt(0)
	v_add_co_ci_u32_e64 v7, null, v7, v5, vcc_lo
.LBB21_393:
	s_or_b32 exec_lo, exec_lo, s26
	v_mov_b32_e32 v15, 0
	v_mov_b32_e32 v72, 2
	s_branch .LBB21_396
.LBB21_394:                             ;   in Loop: Header=BB21_396 Depth=1
	s_or_b32 exec_lo, exec_lo, s26
	v_add_co_u32 v6, vcc_lo, v6, v4
	v_subrev_nc_u32_e32 v14, 32, v14
	v_add_co_ci_u32_e64 v7, null, v7, v5, vcc_lo
	s_mov_b32 s26, 0
.LBB21_395:                             ;   in Loop: Header=BB21_396 Depth=1
	s_and_b32 vcc_lo, exec_lo, s26
	s_cbranch_vccnz .LBB21_412
.LBB21_396:                             ; =>This Loop Header: Depth=1
                                        ;     Child Loop BB21_399 Depth 2
	v_cmp_ne_u16_sdwa s26, v8, v72 src0_sel:BYTE_0 src1_sel:DWORD
	s_waitcnt lgkmcnt(0)
	v_mov_b32_e32 v4, v6
	v_mov_b32_e32 v5, v7
                                        ; implicit-def: $vgpr6_vgpr7
	s_cmp_lg_u32 s26, exec_lo
	s_mov_b32 s26, -1
	s_cbranch_scc1 .LBB21_395
; %bb.397:                              ;   in Loop: Header=BB21_396 Depth=1
	v_lshlrev_b64 v[6:7], 4, v[14:15]
	v_add_co_u32 v16, vcc_lo, s28, v6
	v_add_co_ci_u32_e64 v17, null, s29, v7, vcc_lo
	;;#ASMSTART
	global_load_dwordx4 v[6:9], v[16:17] off glc dlc	
s_waitcnt vmcnt(0)
	;;#ASMEND
	v_cmp_eq_u16_sdwa s27, v8, v15 src0_sel:BYTE_0 src1_sel:DWORD
	s_and_saveexec_b32 s26, s27
	s_cbranch_execz .LBB21_401
; %bb.398:                              ;   in Loop: Header=BB21_396 Depth=1
	s_mov_b32 s27, 0
.LBB21_399:                             ;   Parent Loop BB21_396 Depth=1
                                        ; =>  This Inner Loop Header: Depth=2
	;;#ASMSTART
	global_load_dwordx4 v[6:9], v[16:17] off glc dlc	
s_waitcnt vmcnt(0)
	;;#ASMEND
	v_cmp_ne_u16_sdwa s31, v8, v15 src0_sel:BYTE_0 src1_sel:DWORD
	s_or_b32 s27, s31, s27
	s_andn2_b32 exec_lo, exec_lo, s27
	s_cbranch_execnz .LBB21_399
; %bb.400:                              ;   in Loop: Header=BB21_396 Depth=1
	s_or_b32 exec_lo, exec_lo, s27
.LBB21_401:                             ;   in Loop: Header=BB21_396 Depth=1
	s_or_b32 exec_lo, exec_lo, s26
	ds_bpermute_b32 v73, v62, v6
	ds_bpermute_b32 v17, v62, v7
	v_cmp_eq_u16_sdwa s26, v8, v72 src0_sel:BYTE_0 src1_sel:DWORD
	v_mov_b32_e32 v16, v6
	v_and_or_b32 v9, s26, v63, 0x80000000
	s_mov_b32 s26, exec_lo
	v_ffbl_b32_e32 v9, v9
	v_cmpx_lt_u32_e64 v60, v9
	s_cbranch_execz .LBB21_403
; %bb.402:                              ;   in Loop: Header=BB21_396 Depth=1
	s_waitcnt lgkmcnt(1)
	v_add_co_u32 v16, vcc_lo, v6, v73
	v_add_co_ci_u32_e64 v7, null, 0, v7, vcc_lo
	v_add_co_u32 v6, vcc_lo, 0, v16
	s_waitcnt lgkmcnt(0)
	v_add_co_ci_u32_e64 v7, null, v17, v7, vcc_lo
.LBB21_403:                             ;   in Loop: Header=BB21_396 Depth=1
	s_or_b32 exec_lo, exec_lo, s26
	s_waitcnt lgkmcnt(1)
	ds_bpermute_b32 v73, v64, v16
	s_waitcnt lgkmcnt(1)
	ds_bpermute_b32 v17, v64, v7
	s_mov_b32 s26, exec_lo
	v_cmpx_le_u32_e64 v65, v9
	s_cbranch_execz .LBB21_405
; %bb.404:                              ;   in Loop: Header=BB21_396 Depth=1
	s_waitcnt lgkmcnt(1)
	v_add_co_u32 v16, vcc_lo, v6, v73
	v_add_co_ci_u32_e64 v7, null, 0, v7, vcc_lo
	v_add_co_u32 v6, vcc_lo, 0, v16
	s_waitcnt lgkmcnt(0)
	v_add_co_ci_u32_e64 v7, null, v17, v7, vcc_lo
.LBB21_405:                             ;   in Loop: Header=BB21_396 Depth=1
	s_or_b32 exec_lo, exec_lo, s26
	s_waitcnt lgkmcnt(1)
	ds_bpermute_b32 v73, v66, v16
	s_waitcnt lgkmcnt(1)
	ds_bpermute_b32 v17, v66, v7
	s_mov_b32 s26, exec_lo
	v_cmpx_le_u32_e64 v67, v9
	;; [unrolled: 16-line block ×3, first 2 shown]
	s_cbranch_execz .LBB21_409
; %bb.408:                              ;   in Loop: Header=BB21_396 Depth=1
	s_waitcnt lgkmcnt(1)
	v_add_co_u32 v16, vcc_lo, v6, v73
	v_add_co_ci_u32_e64 v7, null, 0, v7, vcc_lo
	v_add_co_u32 v6, vcc_lo, 0, v16
	s_waitcnt lgkmcnt(0)
	v_add_co_ci_u32_e64 v7, null, v17, v7, vcc_lo
.LBB21_409:                             ;   in Loop: Header=BB21_396 Depth=1
	s_or_b32 exec_lo, exec_lo, s26
	s_waitcnt lgkmcnt(0)
	ds_bpermute_b32 v17, v70, v16
	ds_bpermute_b32 v16, v70, v7
	s_mov_b32 s26, exec_lo
	v_cmpx_le_u32_e64 v71, v9
	s_cbranch_execz .LBB21_394
; %bb.410:                              ;   in Loop: Header=BB21_396 Depth=1
	s_waitcnt lgkmcnt(1)
	v_add_co_u32 v6, vcc_lo, v6, v17
	v_add_co_ci_u32_e64 v7, null, 0, v7, vcc_lo
	v_add_co_u32 v6, vcc_lo, v6, 0
	s_waitcnt lgkmcnt(0)
	v_add_co_ci_u32_e64 v7, null, v7, v16, vcc_lo
	s_branch .LBB21_394
.LBB21_411:
                                        ; implicit-def: $vgpr4_vgpr5
                                        ; implicit-def: $vgpr6_vgpr7
	s_cbranch_execnz .LBB21_417
	s_branch .LBB21_442
.LBB21_412:
	s_and_saveexec_b32 s26, s22
	s_cbranch_execz .LBB21_414
; %bb.413:
	s_add_i32 s30, s30, 32
	s_mov_b32 s31, 0
	v_add_co_u32 v6, vcc_lo, v4, v2
	s_lshl_b64 s[30:31], s[30:31], 4
	v_mov_b32_e32 v9, 0
	s_add_u32 s30, s28, s30
	s_addc_u32 s31, s29, s31
	v_mov_b32_e32 v14, s30
	v_add_co_ci_u32_e64 v7, null, v5, v3, vcc_lo
	v_mov_b32_e32 v8, 2
	v_mov_b32_e32 v15, s31
	;;#ASMSTART
	global_store_dwordx4 v[14:15], v[6:9] off	
s_waitcnt vmcnt(0)
	;;#ASMEND
	ds_write_b128 v9, v[2:5] offset:64
.LBB21_414:
	s_or_b32 exec_lo, exec_lo, s26
	s_and_b32 exec_lo, exec_lo, s1
; %bb.415:
	v_mov_b32_e32 v2, 0
	ds_write_b64 v2, v[4:5] offset:56
.LBB21_416:
	s_or_b32 exec_lo, exec_lo, s23
	v_mov_b32_e32 v2, 0
	s_waitcnt lgkmcnt(0)
	s_barrier
	buffer_gl0_inv
	v_cndmask_b32_e64 v8, 0, v13, s22
	ds_read_b64 v[6:7], v2 offset:56
	s_waitcnt lgkmcnt(0)
	s_barrier
	buffer_gl0_inv
	ds_read_b128 v[2:5], v2 offset:64
	s_waitcnt lgkmcnt(0)
	v_cndmask_b32_e64 v3, v61, v12, s22
	v_cndmask_b32_e64 v8, v8, 0, s1
	;; [unrolled: 1-line block ×3, first 2 shown]
	v_add_co_u32 v6, vcc_lo, v6, v3
	v_add_co_ci_u32_e64 v3, null, v7, v8, vcc_lo
	s_branch .LBB21_442
.LBB21_417:
	v_mov_b32_e32 v4, 0
	v_mov_b32_e32 v2, v10
	v_and_b32_e32 v5, 15, v60
	v_mov_b32_dpp v7, v10 row_shr:1 row_mask:0xf bank_mask:0xf
	v_mov_b32_e32 v3, v11
	v_mov_b32_dpp v6, v4 row_shr:1 row_mask:0xf bank_mask:0xf
	s_mov_b32 s22, exec_lo
	v_cmpx_ne_u32_e32 0, v5
; %bb.418:
	v_add_co_u32 v10, s23, v7, v10
	v_add_co_ci_u32_e64 v2, null, 0, 0, s23
	v_add_co_u32 v3, vcc_lo, 0, v10
	v_add_co_ci_u32_e64 v4, null, v6, v2, vcc_lo
	v_mov_b32_e32 v2, v3
	v_mov_b32_e32 v3, v4
; %bb.419:
	s_or_b32 exec_lo, exec_lo, s22
	v_mov_b32_dpp v7, v10 row_shr:2 row_mask:0xf bank_mask:0xf
	v_mov_b32_dpp v6, v4 row_shr:2 row_mask:0xf bank_mask:0xf
	s_mov_b32 s22, exec_lo
	v_cmpx_lt_u32_e32 1, v5
; %bb.420:
	v_add_co_u32 v10, vcc_lo, v2, v7
	v_add_co_ci_u32_e64 v2, null, 0, v3, vcc_lo
	v_add_co_u32 v3, vcc_lo, 0, v10
	v_add_co_ci_u32_e64 v4, null, v6, v2, vcc_lo
	v_mov_b32_e32 v2, v3
	v_mov_b32_e32 v3, v4
; %bb.421:
	s_or_b32 exec_lo, exec_lo, s22
	v_mov_b32_dpp v7, v10 row_shr:4 row_mask:0xf bank_mask:0xf
	v_mov_b32_dpp v6, v4 row_shr:4 row_mask:0xf bank_mask:0xf
	s_mov_b32 s22, exec_lo
	v_cmpx_lt_u32_e32 3, v5
; %bb.422:
	v_add_co_u32 v10, vcc_lo, v2, v7
	v_add_co_ci_u32_e64 v2, null, 0, v3, vcc_lo
	;; [unrolled: 13-line block ×3, first 2 shown]
	v_add_co_u32 v2, vcc_lo, 0, v10
	v_add_co_ci_u32_e64 v3, null, v6, v3, vcc_lo
	v_mov_b32_e32 v4, v3
; %bb.425:
	s_or_b32 exec_lo, exec_lo, s22
	ds_swizzle_b32 v5, v10 offset:swizzle(BROADCAST,32,15)
	ds_swizzle_b32 v4, v4 offset:swizzle(BROADCAST,32,15)
	v_and_b32_e32 v6, 16, v60
	s_mov_b32 s22, exec_lo
	v_cmpx_ne_u32_e32 0, v6
	s_cbranch_execz .LBB21_427
; %bb.426:
	s_waitcnt lgkmcnt(1)
	v_add_co_u32 v10, vcc_lo, v2, v5
	v_add_co_ci_u32_e64 v3, null, 0, v3, vcc_lo
	v_add_co_u32 v2, vcc_lo, 0, v10
	s_waitcnt lgkmcnt(0)
	v_add_co_ci_u32_e64 v3, null, v4, v3, vcc_lo
.LBB21_427:
	s_or_b32 exec_lo, exec_lo, s22
	s_waitcnt lgkmcnt(0)
	v_or_b32_e32 v4, 31, v0
	v_lshrrev_b32_e32 v6, 5, v0
	s_mov_b32 s22, exec_lo
	v_cmpx_eq_u32_e64 v0, v4
; %bb.428:
	v_lshlrev_b32_e32 v4, 3, v6
	ds_write_b64 v4, v[2:3]
; %bb.429:
	s_or_b32 exec_lo, exec_lo, s22
	s_mov_b32 s22, exec_lo
	s_waitcnt lgkmcnt(0)
	s_barrier
	buffer_gl0_inv
	v_cmpx_gt_u32_e32 8, v0
	s_cbranch_execz .LBB21_437
; %bb.430:
	v_lshlrev_b32_e32 v4, 3, v0
	v_and_b32_e32 v5, 7, v60
	s_mov_b32 s23, exec_lo
	ds_read_b64 v[2:3], v4
	s_waitcnt lgkmcnt(0)
	v_mov_b32_dpp v9, v2 row_shr:1 row_mask:0xf bank_mask:0xf
	v_mov_b32_dpp v8, v3 row_shr:1 row_mask:0xf bank_mask:0xf
	v_mov_b32_e32 v7, v2
	v_cmpx_ne_u32_e32 0, v5
; %bb.431:
	v_add_co_u32 v7, vcc_lo, v2, v9
	v_add_co_ci_u32_e64 v3, null, 0, v3, vcc_lo
	v_add_co_u32 v2, vcc_lo, 0, v7
	v_add_co_ci_u32_e64 v3, null, v8, v3, vcc_lo
; %bb.432:
	s_or_b32 exec_lo, exec_lo, s23
	v_mov_b32_dpp v9, v7 row_shr:2 row_mask:0xf bank_mask:0xf
	v_mov_b32_dpp v8, v3 row_shr:2 row_mask:0xf bank_mask:0xf
	s_mov_b32 s23, exec_lo
	v_cmpx_lt_u32_e32 1, v5
; %bb.433:
	v_add_co_u32 v7, vcc_lo, v2, v9
	v_add_co_ci_u32_e64 v3, null, 0, v3, vcc_lo
	v_add_co_u32 v2, vcc_lo, 0, v7
	v_add_co_ci_u32_e64 v3, null, v8, v3, vcc_lo
; %bb.434:
	s_or_b32 exec_lo, exec_lo, s23
	v_mov_b32_dpp v8, v7 row_shr:4 row_mask:0xf bank_mask:0xf
	v_mov_b32_dpp v7, v3 row_shr:4 row_mask:0xf bank_mask:0xf
	s_mov_b32 s23, exec_lo
	v_cmpx_lt_u32_e32 3, v5
; %bb.435:
	v_add_co_u32 v2, vcc_lo, v2, v8
	v_add_co_ci_u32_e64 v3, null, 0, v3, vcc_lo
	v_add_co_u32 v2, vcc_lo, v2, 0
	v_add_co_ci_u32_e64 v3, null, v3, v7, vcc_lo
; %bb.436:
	s_or_b32 exec_lo, exec_lo, s23
	ds_write_b64 v4, v[2:3]
.LBB21_437:
	s_or_b32 exec_lo, exec_lo, s22
	s_mov_b32 s22, exec_lo
	v_mov_b32_e32 v4, 0
	v_mov_b32_e32 v5, 0
	s_waitcnt lgkmcnt(0)
	s_barrier
	buffer_gl0_inv
	v_cmpx_lt_u32_e32 31, v0
; %bb.438:
	v_lshl_add_u32 v2, v6, 3, -8
	ds_read_b64 v[4:5], v2
; %bb.439:
	s_or_b32 exec_lo, exec_lo, s22
	v_sub_co_u32 v2, vcc_lo, v60, 1
	s_waitcnt lgkmcnt(0)
	v_add_nc_u32_e32 v3, v10, v4
	v_mov_b32_e32 v5, 0
	v_cmp_gt_i32_e64 s22, 0, v2
	v_cndmask_b32_e64 v2, v2, v60, s22
	v_lshlrev_b32_e32 v2, 2, v2
	ds_bpermute_b32 v6, v2, v3
	ds_read_b64 v[2:3], v5 offset:56
	s_waitcnt lgkmcnt(1)
	v_cndmask_b32_e32 v6, v6, v4, vcc_lo
	s_and_saveexec_b32 s22, s1
	s_cbranch_execz .LBB21_441
; %bb.440:
	s_add_u32 s26, s28, 0x200
	s_addc_u32 s27, s29, 0
	v_mov_b32_e32 v7, s26
	v_mov_b32_e32 v4, 2
	;; [unrolled: 1-line block ×3, first 2 shown]
	s_waitcnt lgkmcnt(0)
	;;#ASMSTART
	global_store_dwordx4 v[7:8], v[2:5] off	
s_waitcnt vmcnt(0)
	;;#ASMEND
.LBB21_441:
	s_or_b32 exec_lo, exec_lo, s22
	v_mov_b32_e32 v4, 0
	v_mov_b32_e32 v5, 0
.LBB21_442:
	s_waitcnt lgkmcnt(0)
	v_sub_nc_u32_e32 v3, v6, v4
	s_barrier
	buffer_gl0_inv
	s_and_saveexec_b32 s1, s21
	s_cbranch_execnz .LBB21_473
; %bb.443:
	s_or_b32 exec_lo, exec_lo, s1
	s_and_saveexec_b32 s0, s20
	s_cbranch_execnz .LBB21_474
.LBB21_444:
	s_or_b32 exec_lo, exec_lo, s0
	s_and_saveexec_b32 s0, s19
	s_cbranch_execnz .LBB21_475
.LBB21_445:
	s_or_b32 exec_lo, exec_lo, s0
	s_and_saveexec_b32 s0, s18
	s_cbranch_execnz .LBB21_476
.LBB21_446:
	s_or_b32 exec_lo, exec_lo, s0
	s_and_saveexec_b32 s0, s17
	s_cbranch_execnz .LBB21_477
.LBB21_447:
	s_or_b32 exec_lo, exec_lo, s0
	s_and_saveexec_b32 s0, s16
	s_cbranch_execz .LBB21_449
.LBB21_448:
	v_cndmask_b32_e64 v6, v30, v31, s6
	v_lshlrev_b32_e32 v7, 2, v3
	v_add_nc_u32_e32 v3, 1, v3
	ds_write_b32 v7, v6 offset:1024
.LBB21_449:
	s_or_b32 exec_lo, exec_lo, s0
	v_and_b32_e32 v6, 64, v59
	s_mov_b32 s0, exec_lo
	v_cmpx_ne_u32_e32 0, v6
	s_cbranch_execz .LBB21_451
; %bb.450:
	v_cndmask_b32_e64 v6, v32, v33, s7
	v_lshlrev_b32_e32 v7, 2, v3
	v_add_nc_u32_e32 v3, 1, v3
	ds_write_b32 v7, v6 offset:1024
.LBB21_451:
	s_or_b32 exec_lo, exec_lo, s0
	v_and_b32_e32 v6, 0x80, v58
	s_mov_b32 s0, exec_lo
	v_cmpx_ne_u32_e32 0, v6
	s_cbranch_execz .LBB21_453
; %bb.452:
	v_cndmask_b32_e64 v6, v34, v35, s8
	v_lshlrev_b32_e32 v7, 2, v3
	v_add_nc_u32_e32 v3, 1, v3
	ds_write_b32 v7, v6 offset:1024
.LBB21_453:
	s_or_b32 exec_lo, exec_lo, s0
	v_and_b32_e32 v6, 0x100, v57
	s_mov_b32 s0, exec_lo
	v_cmpx_ne_u32_e32 0, v6
	s_cbranch_execz .LBB21_455
; %bb.454:
	v_cndmask_b32_e64 v6, v36, v37, s9
	v_lshlrev_b32_e32 v7, 2, v3
	v_add_nc_u32_e32 v3, 1, v3
	ds_write_b32 v7, v6 offset:1024
.LBB21_455:
	s_or_b32 exec_lo, exec_lo, s0
	v_and_b32_e32 v6, 0x200, v57
	s_mov_b32 s0, exec_lo
	v_cmpx_ne_u32_e32 0, v6
	s_cbranch_execz .LBB21_457
; %bb.456:
	v_cndmask_b32_e64 v6, v38, v39, s10
	v_lshlrev_b32_e32 v7, 2, v3
	v_add_nc_u32_e32 v3, 1, v3
	ds_write_b32 v7, v6 offset:1024
.LBB21_457:
	s_or_b32 exec_lo, exec_lo, s0
	v_and_b32_e32 v6, 0x400, v56
	s_mov_b32 s0, exec_lo
	v_cmpx_ne_u32_e32 0, v6
	s_cbranch_execz .LBB21_459
; %bb.458:
	v_cndmask_b32_e64 v6, v40, v41, s11
	v_lshlrev_b32_e32 v7, 2, v3
	v_add_nc_u32_e32 v3, 1, v3
	ds_write_b32 v7, v6 offset:1024
.LBB21_459:
	s_or_b32 exec_lo, exec_lo, s0
	v_and_b32_e32 v6, 0x800, v56
	s_mov_b32 s0, exec_lo
	v_cmpx_ne_u32_e32 0, v6
	s_cbranch_execz .LBB21_461
; %bb.460:
	v_cndmask_b32_e64 v6, v42, v43, s12
	v_lshlrev_b32_e32 v7, 2, v3
	v_add_nc_u32_e32 v3, 1, v3
	ds_write_b32 v7, v6 offset:1024
.LBB21_461:
	s_or_b32 exec_lo, exec_lo, s0
	v_and_b32_e32 v6, 0x1000, v55
	s_mov_b32 s0, exec_lo
	v_cmpx_ne_u32_e32 0, v6
	s_cbranch_execz .LBB21_463
; %bb.462:
	v_cndmask_b32_e64 v6, v44, v45, s13
	v_lshlrev_b32_e32 v7, 2, v3
	v_add_nc_u32_e32 v3, 1, v3
	ds_write_b32 v7, v6 offset:1024
.LBB21_463:
	s_or_b32 exec_lo, exec_lo, s0
	v_and_b32_e32 v6, 0x2000, v55
	s_mov_b32 s0, exec_lo
	v_cmpx_ne_u32_e32 0, v6
	s_cbranch_execz .LBB21_465
; %bb.464:
	v_cndmask_b32_e64 v6, v46, v47, s14
	v_lshlrev_b32_e32 v7, 2, v3
	v_add_nc_u32_e32 v3, 1, v3
	ds_write_b32 v7, v6 offset:1024
.LBB21_465:
	s_or_b32 exec_lo, exec_lo, s0
	v_and_b32_e32 v6, 0x4000, v54
	s_mov_b32 s0, exec_lo
	v_cmpx_ne_u32_e32 0, v6
	s_cbranch_execz .LBB21_467
; %bb.466:
	v_cndmask_b32_e64 v6, v48, v49, s15
	v_lshlrev_b32_e32 v7, 2, v3
	v_add_nc_u32_e32 v3, 1, v3
	ds_write_b32 v7, v6 offset:1024
.LBB21_467:
	s_or_b32 exec_lo, exec_lo, s0
	v_and_b32_e32 v6, 0x8000, v54
	s_mov_b32 s1, exec_lo
	v_cmpx_ne_u32_e32 0, v6
	s_cbranch_execz .LBB21_469
; %bb.468:
	v_cmp_lt_i32_e32 vcc_lo, v52, v50
	v_cmp_lt_i32_e64 s0, v53, v19
	v_cmp_ge_i32_sdwa s2, v51, sext(v18) src0_sel:DWORD src1_sel:WORD_1
	v_lshlrev_b32_e32 v3, 2, v3
	s_and_b32 s0, s0, vcc_lo
	s_or_b32 vcc_lo, s2, s0
	v_cndmask_b32_e32 v6, v50, v52, vcc_lo
	ds_write_b32 v3, v6 offset:1024
.LBB21_469:
	s_or_b32 exec_lo, exec_lo, s1
	s_waitcnt lgkmcnt(0)
	s_barrier
	buffer_gl0_inv
	s_mov_b32 s0, exec_lo
	v_cmpx_lt_i32_e64 v0, v2
	s_cbranch_execz .LBB21_472
; %bb.470:
	v_lshlrev_b64 v[3:4], 2, v[4:5]
	v_lshlrev_b64 v[5:6], 2, v[0:1]
	v_lshl_or_b32 v1, v0, 2, 0x400
	s_mov_b32 s1, 0
	v_add_co_u32 v3, vcc_lo, s24, v3
	v_add_co_ci_u32_e64 v4, null, s25, v4, vcc_lo
	v_add_co_u32 v3, vcc_lo, v3, v5
	v_add_co_ci_u32_e64 v4, null, v4, v6, vcc_lo
	.p2align	6
.LBB21_471:                             ; =>This Inner Loop Header: Depth=1
	ds_read_b32 v5, v1
	v_add_nc_u32_e32 v0, 0x100, v0
	v_add_nc_u32_e32 v1, 0x400, v1
	v_cmp_ge_i32_e32 vcc_lo, v0, v2
	s_or_b32 s1, vcc_lo, s1
	s_waitcnt lgkmcnt(0)
	global_store_dword v[3:4], v5, off
	v_add_co_u32 v3, s0, 0x400, v3
	v_add_co_ci_u32_e64 v4, null, 0, v4, s0
	s_andn2_b32 exec_lo, exec_lo, s1
	s_cbranch_execnz .LBB21_471
.LBB21_472:
	s_endpgm
.LBB21_473:
	v_add_nc_u32_e32 v6, 1, v3
	v_cndmask_b32_e64 v7, v20, v21, s0
	v_lshlrev_b32_e32 v8, 2, v3
	v_mov_b32_e32 v3, v6
	ds_write_b32 v8, v7 offset:1024
	s_or_b32 exec_lo, exec_lo, s1
	s_and_saveexec_b32 s0, s20
	s_cbranch_execz .LBB21_444
.LBB21_474:
	v_cndmask_b32_e64 v6, v22, v23, s2
	v_lshlrev_b32_e32 v7, 2, v3
	v_add_nc_u32_e32 v3, 1, v3
	ds_write_b32 v7, v6 offset:1024
	s_or_b32 exec_lo, exec_lo, s0
	s_and_saveexec_b32 s0, s19
	s_cbranch_execz .LBB21_445
.LBB21_475:
	v_cndmask_b32_e64 v6, v24, v25, s3
	v_lshlrev_b32_e32 v7, 2, v3
	v_add_nc_u32_e32 v3, 1, v3
	ds_write_b32 v7, v6 offset:1024
	s_or_b32 exec_lo, exec_lo, s0
	s_and_saveexec_b32 s0, s18
	s_cbranch_execz .LBB21_446
.LBB21_476:
	v_cndmask_b32_e64 v6, v26, v27, s4
	v_lshlrev_b32_e32 v7, 2, v3
	v_add_nc_u32_e32 v3, 1, v3
	ds_write_b32 v7, v6 offset:1024
	s_or_b32 exec_lo, exec_lo, s0
	s_and_saveexec_b32 s0, s17
	s_cbranch_execz .LBB21_447
.LBB21_477:
	v_cndmask_b32_e64 v6, v28, v29, s5
	v_lshlrev_b32_e32 v7, 2, v3
	v_add_nc_u32_e32 v3, 1, v3
	ds_write_b32 v7, v6 offset:1024
	s_or_b32 exec_lo, exec_lo, s0
	s_and_saveexec_b32 s0, s16
	s_cbranch_execnz .LBB21_448
	s_branch .LBB21_449
	.section	.rodata,"a",@progbits
	.p2align	6, 0x0
	.amdhsa_kernel _ZN6thrust23THRUST_200600_302600_NS11hip_rocprim16__set_operations22lookback_set_op_kernelIN7rocprim17ROCPRIM_400000_NS13kernel_configILj256ELj16ELj4294967295EEELb0ENS0_6detail15normal_iteratorINS0_10device_ptrIKiEEEESD_PiSE_lNS9_INSA_IiEEEESE_NS0_4lessIiEENS2_16serial_set_unionENS5_6detail19lookback_scan_stateIlLb0ELb1EEEEEvT1_T2_T3_T4_T6_T7_T8_T9_PNS0_4pairIT5_SW_EEPSW_T10_NSK_16ordered_block_idIjEE
		.amdhsa_group_segment_fixed_size 36868
		.amdhsa_private_segment_fixed_size 0
		.amdhsa_kernarg_size 344
		.amdhsa_user_sgpr_count 6
		.amdhsa_user_sgpr_private_segment_buffer 1
		.amdhsa_user_sgpr_dispatch_ptr 0
		.amdhsa_user_sgpr_queue_ptr 0
		.amdhsa_user_sgpr_kernarg_segment_ptr 1
		.amdhsa_user_sgpr_dispatch_id 0
		.amdhsa_user_sgpr_flat_scratch_init 0
		.amdhsa_user_sgpr_private_segment_size 0
		.amdhsa_wavefront_size32 1
		.amdhsa_uses_dynamic_stack 0
		.amdhsa_system_sgpr_private_segment_wavefront_offset 0
		.amdhsa_system_sgpr_workgroup_id_x 1
		.amdhsa_system_sgpr_workgroup_id_y 0
		.amdhsa_system_sgpr_workgroup_id_z 0
		.amdhsa_system_sgpr_workgroup_info 0
		.amdhsa_system_vgpr_workitem_id 2
		.amdhsa_next_free_vgpr 145
		.amdhsa_next_free_sgpr 36
		.amdhsa_reserve_vcc 1
		.amdhsa_reserve_flat_scratch 0
		.amdhsa_float_round_mode_32 0
		.amdhsa_float_round_mode_16_64 0
		.amdhsa_float_denorm_mode_32 3
		.amdhsa_float_denorm_mode_16_64 3
		.amdhsa_dx10_clamp 1
		.amdhsa_ieee_mode 1
		.amdhsa_fp16_overflow 0
		.amdhsa_workgroup_processor_mode 1
		.amdhsa_memory_ordered 1
		.amdhsa_forward_progress 1
		.amdhsa_shared_vgpr_count 0
		.amdhsa_exception_fp_ieee_invalid_op 0
		.amdhsa_exception_fp_denorm_src 0
		.amdhsa_exception_fp_ieee_div_zero 0
		.amdhsa_exception_fp_ieee_overflow 0
		.amdhsa_exception_fp_ieee_underflow 0
		.amdhsa_exception_fp_ieee_inexact 0
		.amdhsa_exception_int_div_zero 0
	.end_amdhsa_kernel
	.section	.text._ZN6thrust23THRUST_200600_302600_NS11hip_rocprim16__set_operations22lookback_set_op_kernelIN7rocprim17ROCPRIM_400000_NS13kernel_configILj256ELj16ELj4294967295EEELb0ENS0_6detail15normal_iteratorINS0_10device_ptrIKiEEEESD_PiSE_lNS9_INSA_IiEEEESE_NS0_4lessIiEENS2_16serial_set_unionENS5_6detail19lookback_scan_stateIlLb0ELb1EEEEEvT1_T2_T3_T4_T6_T7_T8_T9_PNS0_4pairIT5_SW_EEPSW_T10_NSK_16ordered_block_idIjEE,"axG",@progbits,_ZN6thrust23THRUST_200600_302600_NS11hip_rocprim16__set_operations22lookback_set_op_kernelIN7rocprim17ROCPRIM_400000_NS13kernel_configILj256ELj16ELj4294967295EEELb0ENS0_6detail15normal_iteratorINS0_10device_ptrIKiEEEESD_PiSE_lNS9_INSA_IiEEEESE_NS0_4lessIiEENS2_16serial_set_unionENS5_6detail19lookback_scan_stateIlLb0ELb1EEEEEvT1_T2_T3_T4_T6_T7_T8_T9_PNS0_4pairIT5_SW_EEPSW_T10_NSK_16ordered_block_idIjEE,comdat
.Lfunc_end21:
	.size	_ZN6thrust23THRUST_200600_302600_NS11hip_rocprim16__set_operations22lookback_set_op_kernelIN7rocprim17ROCPRIM_400000_NS13kernel_configILj256ELj16ELj4294967295EEELb0ENS0_6detail15normal_iteratorINS0_10device_ptrIKiEEEESD_PiSE_lNS9_INSA_IiEEEESE_NS0_4lessIiEENS2_16serial_set_unionENS5_6detail19lookback_scan_stateIlLb0ELb1EEEEEvT1_T2_T3_T4_T6_T7_T8_T9_PNS0_4pairIT5_SW_EEPSW_T10_NSK_16ordered_block_idIjEE, .Lfunc_end21-_ZN6thrust23THRUST_200600_302600_NS11hip_rocprim16__set_operations22lookback_set_op_kernelIN7rocprim17ROCPRIM_400000_NS13kernel_configILj256ELj16ELj4294967295EEELb0ENS0_6detail15normal_iteratorINS0_10device_ptrIKiEEEESD_PiSE_lNS9_INSA_IiEEEESE_NS0_4lessIiEENS2_16serial_set_unionENS5_6detail19lookback_scan_stateIlLb0ELb1EEEEEvT1_T2_T3_T4_T6_T7_T8_T9_PNS0_4pairIT5_SW_EEPSW_T10_NSK_16ordered_block_idIjEE
                                        ; -- End function
	.set _ZN6thrust23THRUST_200600_302600_NS11hip_rocprim16__set_operations22lookback_set_op_kernelIN7rocprim17ROCPRIM_400000_NS13kernel_configILj256ELj16ELj4294967295EEELb0ENS0_6detail15normal_iteratorINS0_10device_ptrIKiEEEESD_PiSE_lNS9_INSA_IiEEEESE_NS0_4lessIiEENS2_16serial_set_unionENS5_6detail19lookback_scan_stateIlLb0ELb1EEEEEvT1_T2_T3_T4_T6_T7_T8_T9_PNS0_4pairIT5_SW_EEPSW_T10_NSK_16ordered_block_idIjEE.num_vgpr, 79
	.set _ZN6thrust23THRUST_200600_302600_NS11hip_rocprim16__set_operations22lookback_set_op_kernelIN7rocprim17ROCPRIM_400000_NS13kernel_configILj256ELj16ELj4294967295EEELb0ENS0_6detail15normal_iteratorINS0_10device_ptrIKiEEEESD_PiSE_lNS9_INSA_IiEEEESE_NS0_4lessIiEENS2_16serial_set_unionENS5_6detail19lookback_scan_stateIlLb0ELb1EEEEEvT1_T2_T3_T4_T6_T7_T8_T9_PNS0_4pairIT5_SW_EEPSW_T10_NSK_16ordered_block_idIjEE.num_agpr, 0
	.set _ZN6thrust23THRUST_200600_302600_NS11hip_rocprim16__set_operations22lookback_set_op_kernelIN7rocprim17ROCPRIM_400000_NS13kernel_configILj256ELj16ELj4294967295EEELb0ENS0_6detail15normal_iteratorINS0_10device_ptrIKiEEEESD_PiSE_lNS9_INSA_IiEEEESE_NS0_4lessIiEENS2_16serial_set_unionENS5_6detail19lookback_scan_stateIlLb0ELb1EEEEEvT1_T2_T3_T4_T6_T7_T8_T9_PNS0_4pairIT5_SW_EEPSW_T10_NSK_16ordered_block_idIjEE.numbered_sgpr, 36
	.set _ZN6thrust23THRUST_200600_302600_NS11hip_rocprim16__set_operations22lookback_set_op_kernelIN7rocprim17ROCPRIM_400000_NS13kernel_configILj256ELj16ELj4294967295EEELb0ENS0_6detail15normal_iteratorINS0_10device_ptrIKiEEEESD_PiSE_lNS9_INSA_IiEEEESE_NS0_4lessIiEENS2_16serial_set_unionENS5_6detail19lookback_scan_stateIlLb0ELb1EEEEEvT1_T2_T3_T4_T6_T7_T8_T9_PNS0_4pairIT5_SW_EEPSW_T10_NSK_16ordered_block_idIjEE.num_named_barrier, 0
	.set _ZN6thrust23THRUST_200600_302600_NS11hip_rocprim16__set_operations22lookback_set_op_kernelIN7rocprim17ROCPRIM_400000_NS13kernel_configILj256ELj16ELj4294967295EEELb0ENS0_6detail15normal_iteratorINS0_10device_ptrIKiEEEESD_PiSE_lNS9_INSA_IiEEEESE_NS0_4lessIiEENS2_16serial_set_unionENS5_6detail19lookback_scan_stateIlLb0ELb1EEEEEvT1_T2_T3_T4_T6_T7_T8_T9_PNS0_4pairIT5_SW_EEPSW_T10_NSK_16ordered_block_idIjEE.private_seg_size, 0
	.set _ZN6thrust23THRUST_200600_302600_NS11hip_rocprim16__set_operations22lookback_set_op_kernelIN7rocprim17ROCPRIM_400000_NS13kernel_configILj256ELj16ELj4294967295EEELb0ENS0_6detail15normal_iteratorINS0_10device_ptrIKiEEEESD_PiSE_lNS9_INSA_IiEEEESE_NS0_4lessIiEENS2_16serial_set_unionENS5_6detail19lookback_scan_stateIlLb0ELb1EEEEEvT1_T2_T3_T4_T6_T7_T8_T9_PNS0_4pairIT5_SW_EEPSW_T10_NSK_16ordered_block_idIjEE.uses_vcc, 1
	.set _ZN6thrust23THRUST_200600_302600_NS11hip_rocprim16__set_operations22lookback_set_op_kernelIN7rocprim17ROCPRIM_400000_NS13kernel_configILj256ELj16ELj4294967295EEELb0ENS0_6detail15normal_iteratorINS0_10device_ptrIKiEEEESD_PiSE_lNS9_INSA_IiEEEESE_NS0_4lessIiEENS2_16serial_set_unionENS5_6detail19lookback_scan_stateIlLb0ELb1EEEEEvT1_T2_T3_T4_T6_T7_T8_T9_PNS0_4pairIT5_SW_EEPSW_T10_NSK_16ordered_block_idIjEE.uses_flat_scratch, 0
	.set _ZN6thrust23THRUST_200600_302600_NS11hip_rocprim16__set_operations22lookback_set_op_kernelIN7rocprim17ROCPRIM_400000_NS13kernel_configILj256ELj16ELj4294967295EEELb0ENS0_6detail15normal_iteratorINS0_10device_ptrIKiEEEESD_PiSE_lNS9_INSA_IiEEEESE_NS0_4lessIiEENS2_16serial_set_unionENS5_6detail19lookback_scan_stateIlLb0ELb1EEEEEvT1_T2_T3_T4_T6_T7_T8_T9_PNS0_4pairIT5_SW_EEPSW_T10_NSK_16ordered_block_idIjEE.has_dyn_sized_stack, 0
	.set _ZN6thrust23THRUST_200600_302600_NS11hip_rocprim16__set_operations22lookback_set_op_kernelIN7rocprim17ROCPRIM_400000_NS13kernel_configILj256ELj16ELj4294967295EEELb0ENS0_6detail15normal_iteratorINS0_10device_ptrIKiEEEESD_PiSE_lNS9_INSA_IiEEEESE_NS0_4lessIiEENS2_16serial_set_unionENS5_6detail19lookback_scan_stateIlLb0ELb1EEEEEvT1_T2_T3_T4_T6_T7_T8_T9_PNS0_4pairIT5_SW_EEPSW_T10_NSK_16ordered_block_idIjEE.has_recursion, 0
	.set _ZN6thrust23THRUST_200600_302600_NS11hip_rocprim16__set_operations22lookback_set_op_kernelIN7rocprim17ROCPRIM_400000_NS13kernel_configILj256ELj16ELj4294967295EEELb0ENS0_6detail15normal_iteratorINS0_10device_ptrIKiEEEESD_PiSE_lNS9_INSA_IiEEEESE_NS0_4lessIiEENS2_16serial_set_unionENS5_6detail19lookback_scan_stateIlLb0ELb1EEEEEvT1_T2_T3_T4_T6_T7_T8_T9_PNS0_4pairIT5_SW_EEPSW_T10_NSK_16ordered_block_idIjEE.has_indirect_call, 0
	.section	.AMDGPU.csdata,"",@progbits
; Kernel info:
; codeLenInByte = 20744
; TotalNumSgprs: 38
; NumVgprs: 79
; ScratchSize: 0
; MemoryBound: 0
; FloatMode: 240
; IeeeMode: 1
; LDSByteSize: 36868 bytes/workgroup (compile time only)
; SGPRBlocks: 0
; VGPRBlocks: 18
; NumSGPRsForWavesPerEU: 38
; NumVGPRsForWavesPerEU: 145
; Occupancy: 6
; WaveLimiterHint : 1
; COMPUTE_PGM_RSRC2:SCRATCH_EN: 0
; COMPUTE_PGM_RSRC2:USER_SGPR: 6
; COMPUTE_PGM_RSRC2:TRAP_HANDLER: 0
; COMPUTE_PGM_RSRC2:TGID_X_EN: 1
; COMPUTE_PGM_RSRC2:TGID_Y_EN: 0
; COMPUTE_PGM_RSRC2:TGID_Z_EN: 0
; COMPUTE_PGM_RSRC2:TIDIG_COMP_CNT: 2
	.section	.text._ZN6thrust23THRUST_200600_302600_NS11hip_rocprim14__parallel_for6kernelILj256EZNS1_16__set_operations9doit_stepILb0ENS0_6detail15normal_iteratorINS0_10device_ptrIKiEEEESB_PiSC_lNS7_INS8_IiEEEESC_NS0_4lessIiEENS4_23serial_set_intersectionEEE10hipError_tPvRmT0_T1_T2_T3_T4_SP_T5_T6_PSP_T7_T8_P12ihipStream_tbEUllE_jLj1EEEvSL_SM_SM_,"axG",@progbits,_ZN6thrust23THRUST_200600_302600_NS11hip_rocprim14__parallel_for6kernelILj256EZNS1_16__set_operations9doit_stepILb0ENS0_6detail15normal_iteratorINS0_10device_ptrIKiEEEESB_PiSC_lNS7_INS8_IiEEEESC_NS0_4lessIiEENS4_23serial_set_intersectionEEE10hipError_tPvRmT0_T1_T2_T3_T4_SP_T5_T6_PSP_T7_T8_P12ihipStream_tbEUllE_jLj1EEEvSL_SM_SM_,comdat
	.protected	_ZN6thrust23THRUST_200600_302600_NS11hip_rocprim14__parallel_for6kernelILj256EZNS1_16__set_operations9doit_stepILb0ENS0_6detail15normal_iteratorINS0_10device_ptrIKiEEEESB_PiSC_lNS7_INS8_IiEEEESC_NS0_4lessIiEENS4_23serial_set_intersectionEEE10hipError_tPvRmT0_T1_T2_T3_T4_SP_T5_T6_PSP_T7_T8_P12ihipStream_tbEUllE_jLj1EEEvSL_SM_SM_ ; -- Begin function _ZN6thrust23THRUST_200600_302600_NS11hip_rocprim14__parallel_for6kernelILj256EZNS1_16__set_operations9doit_stepILb0ENS0_6detail15normal_iteratorINS0_10device_ptrIKiEEEESB_PiSC_lNS7_INS8_IiEEEESC_NS0_4lessIiEENS4_23serial_set_intersectionEEE10hipError_tPvRmT0_T1_T2_T3_T4_SP_T5_T6_PSP_T7_T8_P12ihipStream_tbEUllE_jLj1EEEvSL_SM_SM_
	.globl	_ZN6thrust23THRUST_200600_302600_NS11hip_rocprim14__parallel_for6kernelILj256EZNS1_16__set_operations9doit_stepILb0ENS0_6detail15normal_iteratorINS0_10device_ptrIKiEEEESB_PiSC_lNS7_INS8_IiEEEESC_NS0_4lessIiEENS4_23serial_set_intersectionEEE10hipError_tPvRmT0_T1_T2_T3_T4_SP_T5_T6_PSP_T7_T8_P12ihipStream_tbEUllE_jLj1EEEvSL_SM_SM_
	.p2align	8
	.type	_ZN6thrust23THRUST_200600_302600_NS11hip_rocprim14__parallel_for6kernelILj256EZNS1_16__set_operations9doit_stepILb0ENS0_6detail15normal_iteratorINS0_10device_ptrIKiEEEESB_PiSC_lNS7_INS8_IiEEEESC_NS0_4lessIiEENS4_23serial_set_intersectionEEE10hipError_tPvRmT0_T1_T2_T3_T4_SP_T5_T6_PSP_T7_T8_P12ihipStream_tbEUllE_jLj1EEEvSL_SM_SM_,@function
_ZN6thrust23THRUST_200600_302600_NS11hip_rocprim14__parallel_for6kernelILj256EZNS1_16__set_operations9doit_stepILb0ENS0_6detail15normal_iteratorINS0_10device_ptrIKiEEEESB_PiSC_lNS7_INS8_IiEEEESC_NS0_4lessIiEENS4_23serial_set_intersectionEEE10hipError_tPvRmT0_T1_T2_T3_T4_SP_T5_T6_PSP_T7_T8_P12ihipStream_tbEUllE_jLj1EEEvSL_SM_SM_: ; @_ZN6thrust23THRUST_200600_302600_NS11hip_rocprim14__parallel_for6kernelILj256EZNS1_16__set_operations9doit_stepILb0ENS0_6detail15normal_iteratorINS0_10device_ptrIKiEEEESB_PiSC_lNS7_INS8_IiEEEESC_NS0_4lessIiEENS4_23serial_set_intersectionEEE10hipError_tPvRmT0_T1_T2_T3_T4_SP_T5_T6_PSP_T7_T8_P12ihipStream_tbEUllE_jLj1EEEvSL_SM_SM_
; %bb.0:
	s_clause 0x2
	s_load_dwordx2 s[0:1], s[4:5], 0x30
	s_load_dwordx2 s[2:3], s[4:5], 0x20
	s_load_dwordx8 s[8:15], s[4:5], 0x0
	s_lshl_b32 s4, s6, 8
	s_waitcnt lgkmcnt(0)
	s_add_i32 s1, s1, s4
	s_sub_i32 s4, s0, s1
	s_mov_b32 s0, -1
	s_cmpk_gt_u32 s4, 0xff
	s_cbranch_scc0 .LBB22_3
; %bb.1:
	s_andn2_b32 vcc_lo, exec_lo, s0
	s_cbranch_vccz .LBB22_40
.LBB22_2:
	s_endpgm
.LBB22_3:
	v_cmp_gt_u32_e32 vcc_lo, s4, v0
	s_and_saveexec_b32 s4, vcc_lo
	s_cbranch_execz .LBB22_39
; %bb.4:
	v_add_nc_u32_e32 v3, s1, v0
	s_add_u32 s6, s10, s8
	s_addc_u32 s7, s11, s9
	v_mov_b32_e32 v4, 0
	s_mov_b32 s5, 0
	v_mad_u64_u32 v[1:2], null, 0xfff, v3, 0
	v_cmp_lt_i64_e32 vcc_lo, s[6:7], v[1:2]
	v_cndmask_b32_e64 v5, v1, s6, vcc_lo
	v_cndmask_b32_e64 v6, v2, s7, vcc_lo
	v_sub_co_u32 v1, vcc_lo, v5, s10
	v_subrev_co_ci_u32_e64 v2, null, s11, v6, vcc_lo
	v_cmp_lt_i64_e64 s0, s[8:9], v[5:6]
	v_cmp_lt_i64_e32 vcc_lo, 0, v[1:2]
	v_cndmask_b32_e64 v8, v6, s9, s0
	v_cndmask_b32_e64 v7, v5, s8, s0
	s_mov_b32 s0, exec_lo
	v_cndmask_b32_e32 v2, 0, v2, vcc_lo
	v_cndmask_b32_e32 v1, 0, v1, vcc_lo
	v_cmpx_lt_i64_e64 v[1:2], v[7:8]
	s_cbranch_execz .LBB22_8
; %bb.5:
	v_lshlrev_b64 v[9:10], 2, v[5:6]
	v_add_co_u32 v9, vcc_lo, s2, v9
	v_add_co_ci_u32_e64 v10, null, s3, v10, vcc_lo
	s_inst_prefetch 0x1
	.p2align	6
.LBB22_6:                               ; =>This Inner Loop Header: Depth=1
	v_add_co_u32 v11, vcc_lo, v7, v1
	v_add_co_ci_u32_e64 v12, null, v8, v2, vcc_lo
	v_lshrrev_b64 v[11:12], 1, v[11:12]
	v_lshlrev_b64 v[13:14], 2, v[11:12]
	v_xor_b32_e32 v15, -4, v13
	v_xor_b32_e32 v16, -1, v14
	v_add_co_u32 v13, vcc_lo, s14, v13
	v_add_co_ci_u32_e64 v14, null, s15, v14, vcc_lo
	v_add_co_u32 v15, vcc_lo, v9, v15
	v_add_co_ci_u32_e64 v16, null, v10, v16, vcc_lo
	global_load_dword v13, v[13:14], off
	global_load_dword v14, v[15:16], off
	v_add_co_u32 v15, vcc_lo, v11, 1
	v_add_co_ci_u32_e64 v16, null, 0, v12, vcc_lo
	s_waitcnt vmcnt(0)
	v_cmp_lt_i32_e32 vcc_lo, v14, v13
	v_cndmask_b32_e32 v8, v8, v12, vcc_lo
	v_cndmask_b32_e32 v7, v7, v11, vcc_lo
	;; [unrolled: 1-line block ×4, first 2 shown]
	v_cmp_ge_i64_e32 vcc_lo, v[1:2], v[7:8]
	s_or_b32 s5, vcc_lo, s5
	s_andn2_b32 exec_lo, exec_lo, s5
	s_cbranch_execnz .LBB22_6
; %bb.7:
	s_inst_prefetch 0x2
	s_or_b32 exec_lo, exec_lo, s5
.LBB22_8:
	s_or_b32 exec_lo, exec_lo, s0
	v_sub_co_u32 v11, vcc_lo, v5, v1
	v_mov_b32_e32 v9, 0
	v_sub_co_ci_u32_e64 v12, null, v6, v2, vcc_lo
	v_mov_b32_e32 v10, 0
	s_mov_b32 s5, exec_lo
	v_cmpx_gt_i64_e64 s[10:11], v[11:12]
	s_cbranch_execz .LBB22_38
; %bb.9:
	v_lshlrev_b64 v[7:8], 2, v[11:12]
	v_mov_b32_e32 v13, 0
	v_mov_b32_e32 v14, 0
	s_mov_b32 s0, exec_lo
	v_add_co_u32 v9, vcc_lo, s2, v7
	v_add_co_ci_u32_e64 v10, null, s3, v8, vcc_lo
	v_mov_b32_e32 v7, 0
	v_mov_b32_e32 v8, 0
	global_load_dword v19, v[9:10], off
	v_cmpx_lt_i64_e32 0, v[1:2]
	s_cbranch_execnz .LBB22_14
; %bb.10:
	s_or_b32 exec_lo, exec_lo, s0
	s_mov_b32 s0, exec_lo
	v_cmpx_lt_u64_e64 v[7:8], v[13:14]
	s_cbranch_execnz .LBB22_15
.LBB22_11:
	s_or_b32 exec_lo, exec_lo, s0
	s_mov_b32 s0, exec_lo
	v_cmpx_lt_u64_e64 v[7:8], v[13:14]
	s_cbranch_execnz .LBB22_16
.LBB22_12:
	s_or_b32 exec_lo, exec_lo, s0
	s_mov_b32 s0, exec_lo
	v_cmpx_lt_u64_e64 v[7:8], v[13:14]
	s_cbranch_execnz .LBB22_17
.LBB22_13:
	s_or_b32 exec_lo, exec_lo, s0
	s_mov_b32 s0, exec_lo
	v_cmpx_lt_u64_e64 v[7:8], v[13:14]
	s_cbranch_execnz .LBB22_18
	s_branch .LBB22_21
.LBB22_14:
	v_mad_u64_u32 v[7:8], null, 0x1ff, v1, 0
	v_mad_u64_u32 v[13:14], null, 0x1ff, v2, v[8:9]
	v_mov_b32_e32 v8, v13
	v_lshrrev_b64 v[13:14], 9, v[7:8]
	v_lshlrev_b64 v[7:8], 2, v[13:14]
	v_add_co_u32 v7, vcc_lo, s14, v7
	v_add_co_ci_u32_e64 v8, null, s15, v8, vcc_lo
	v_add_co_u32 v15, vcc_lo, v13, 1
	global_load_dword v7, v[7:8], off
	v_add_co_ci_u32_e64 v8, null, 0, v14, vcc_lo
	s_waitcnt vmcnt(0)
	v_cmp_lt_i32_e32 vcc_lo, v7, v19
	v_cndmask_b32_e32 v8, 0, v8, vcc_lo
	v_cndmask_b32_e32 v7, 0, v15, vcc_lo
	;; [unrolled: 1-line block ×4, first 2 shown]
	s_or_b32 exec_lo, exec_lo, s0
	s_mov_b32 s0, exec_lo
	v_cmpx_lt_u64_e64 v[7:8], v[13:14]
	s_cbranch_execz .LBB22_11
.LBB22_15:
	v_mad_u64_u32 v[15:16], null, 0x7f, v13, v[7:8]
	v_mad_u64_u32 v[16:17], null, 0x7f, v14, v[16:17]
	v_lshrrev_b64 v[15:16], 7, v[15:16]
	v_lshlrev_b64 v[17:18], 2, v[15:16]
	v_add_co_u32 v17, vcc_lo, s14, v17
	v_add_co_ci_u32_e64 v18, null, s15, v18, vcc_lo
	global_load_dword v17, v[17:18], off
	v_add_co_u32 v18, vcc_lo, v15, 1
	v_add_co_ci_u32_e64 v20, null, 0, v16, vcc_lo
	s_waitcnt vmcnt(0)
	v_cmp_lt_i32_e32 vcc_lo, v17, v19
	v_cndmask_b32_e32 v8, v8, v20, vcc_lo
	v_cndmask_b32_e32 v7, v7, v18, vcc_lo
	;; [unrolled: 1-line block ×4, first 2 shown]
	s_or_b32 exec_lo, exec_lo, s0
	s_mov_b32 s0, exec_lo
	v_cmpx_lt_u64_e64 v[7:8], v[13:14]
	s_cbranch_execz .LBB22_12
.LBB22_16:
	v_mad_u64_u32 v[15:16], null, v13, 31, v[7:8]
	v_mad_u64_u32 v[16:17], null, v14, 31, v[16:17]
	v_lshrrev_b64 v[15:16], 5, v[15:16]
	v_lshlrev_b64 v[17:18], 2, v[15:16]
	v_add_co_u32 v17, vcc_lo, s14, v17
	v_add_co_ci_u32_e64 v18, null, s15, v18, vcc_lo
	global_load_dword v17, v[17:18], off
	v_add_co_u32 v18, vcc_lo, v15, 1
	v_add_co_ci_u32_e64 v20, null, 0, v16, vcc_lo
	s_waitcnt vmcnt(0)
	v_cmp_lt_i32_e32 vcc_lo, v17, v19
	v_cndmask_b32_e32 v8, v8, v20, vcc_lo
	v_cndmask_b32_e32 v7, v7, v18, vcc_lo
	;; [unrolled: 1-line block ×4, first 2 shown]
	s_or_b32 exec_lo, exec_lo, s0
	s_mov_b32 s0, exec_lo
	v_cmpx_lt_u64_e64 v[7:8], v[13:14]
	s_cbranch_execz .LBB22_13
.LBB22_17:
	v_mad_u64_u32 v[15:16], null, v13, 15, v[7:8]
	v_mad_u64_u32 v[16:17], null, v14, 15, v[16:17]
	v_lshrrev_b64 v[15:16], 4, v[15:16]
	v_lshlrev_b64 v[17:18], 2, v[15:16]
	v_add_co_u32 v17, vcc_lo, s14, v17
	v_add_co_ci_u32_e64 v18, null, s15, v18, vcc_lo
	global_load_dword v17, v[17:18], off
	v_add_co_u32 v18, vcc_lo, v15, 1
	v_add_co_ci_u32_e64 v20, null, 0, v16, vcc_lo
	s_waitcnt vmcnt(0)
	v_cmp_lt_i32_e32 vcc_lo, v17, v19
	v_cndmask_b32_e32 v8, v8, v20, vcc_lo
	v_cndmask_b32_e32 v7, v7, v18, vcc_lo
	;; [unrolled: 1-line block ×4, first 2 shown]
	s_or_b32 exec_lo, exec_lo, s0
	s_mov_b32 s0, exec_lo
	v_cmpx_lt_u64_e64 v[7:8], v[13:14]
	s_cbranch_execz .LBB22_21
.LBB22_18:
	s_mov_b32 s6, 0
	.p2align	6
.LBB22_19:                              ; =>This Inner Loop Header: Depth=1
	v_add_co_u32 v15, vcc_lo, v7, v13
	v_add_co_ci_u32_e64 v16, null, v8, v14, vcc_lo
	v_lshrrev_b64 v[15:16], 1, v[15:16]
	v_lshlrev_b64 v[17:18], 2, v[15:16]
	v_add_co_u32 v17, vcc_lo, s14, v17
	v_add_co_ci_u32_e64 v18, null, s15, v18, vcc_lo
	global_load_dword v17, v[17:18], off
	v_add_co_u32 v18, vcc_lo, v15, 1
	v_add_co_ci_u32_e64 v20, null, 0, v16, vcc_lo
	s_waitcnt vmcnt(0)
	v_cmp_lt_i32_e32 vcc_lo, v17, v19
	v_cndmask_b32_e32 v8, v8, v20, vcc_lo
	v_cndmask_b32_e32 v7, v7, v18, vcc_lo
	;; [unrolled: 1-line block ×4, first 2 shown]
	v_cmp_ge_i64_e32 vcc_lo, v[7:8], v[13:14]
	s_or_b32 s6, vcc_lo, s6
	s_andn2_b32 exec_lo, exec_lo, s6
	s_cbranch_execnz .LBB22_19
; %bb.20:
	s_or_b32 exec_lo, exec_lo, s6
.LBB22_21:
	s_or_b32 exec_lo, exec_lo, s0
	v_mov_b32_e32 v13, 0
	v_mov_b32_e32 v16, v12
	;; [unrolled: 1-line block ×4, first 2 shown]
	s_mov_b32 s0, exec_lo
	v_cmpx_lt_i64_e32 0, v[11:12]
	s_cbranch_execnz .LBB22_26
; %bb.22:
	s_or_b32 exec_lo, exec_lo, s0
	s_mov_b32 s0, exec_lo
	v_cmpx_lt_i64_e64 v[13:14], v[15:16]
	s_cbranch_execnz .LBB22_27
.LBB22_23:
	s_or_b32 exec_lo, exec_lo, s0
	s_mov_b32 s0, exec_lo
	v_cmpx_lt_i64_e64 v[13:14], v[15:16]
	s_cbranch_execnz .LBB22_28
.LBB22_24:
	s_or_b32 exec_lo, exec_lo, s0
	s_mov_b32 s0, exec_lo
	v_cmpx_lt_i64_e64 v[13:14], v[15:16]
	s_cbranch_execnz .LBB22_29
.LBB22_25:
	s_or_b32 exec_lo, exec_lo, s0
	s_mov_b32 s0, exec_lo
	v_cmpx_lt_i64_e64 v[13:14], v[15:16]
	s_cbranch_execnz .LBB22_30
	s_branch .LBB22_33
.LBB22_26:
	v_mad_u64_u32 v[13:14], null, 0x1ff, v11, 0
	v_mad_u64_u32 v[14:15], null, 0x1ff, v12, v[14:15]
	v_lshrrev_b64 v[15:16], 9, v[13:14]
	v_lshlrev_b64 v[13:14], 2, v[15:16]
	v_add_co_u32 v13, vcc_lo, s2, v13
	v_add_co_ci_u32_e64 v14, null, s3, v14, vcc_lo
	v_add_co_u32 v17, vcc_lo, v15, 1
	global_load_dword v13, v[13:14], off
	v_add_co_ci_u32_e64 v14, null, 0, v16, vcc_lo
	s_waitcnt vmcnt(0)
	v_cmp_lt_i32_e32 vcc_lo, v13, v19
	v_cndmask_b32_e32 v14, 0, v14, vcc_lo
	v_cndmask_b32_e32 v13, 0, v17, vcc_lo
	;; [unrolled: 1-line block ×4, first 2 shown]
	s_or_b32 exec_lo, exec_lo, s0
	s_mov_b32 s0, exec_lo
	v_cmpx_lt_i64_e64 v[13:14], v[15:16]
	s_cbranch_execz .LBB22_23
.LBB22_27:
	v_mad_u64_u32 v[17:18], null, 0x7f, v15, v[13:14]
	s_waitcnt vmcnt(0)
	v_mad_u64_u32 v[20:21], null, 0x7f, v16, v[18:19]
	v_mov_b32_e32 v18, v20
	v_lshrrev_b64 v[17:18], 7, v[17:18]
	v_lshlrev_b64 v[20:21], 2, v[17:18]
	v_add_co_u32 v20, vcc_lo, s2, v20
	v_add_co_ci_u32_e64 v21, null, s3, v21, vcc_lo
	global_load_dword v20, v[20:21], off
	v_add_co_u32 v21, vcc_lo, v17, 1
	v_add_co_ci_u32_e64 v22, null, 0, v18, vcc_lo
	s_waitcnt vmcnt(0)
	v_cmp_lt_i32_e32 vcc_lo, v20, v19
	v_cndmask_b32_e32 v14, v14, v22, vcc_lo
	v_cndmask_b32_e32 v13, v13, v21, vcc_lo
	;; [unrolled: 1-line block ×4, first 2 shown]
	s_or_b32 exec_lo, exec_lo, s0
	s_mov_b32 s0, exec_lo
	v_cmpx_lt_i64_e64 v[13:14], v[15:16]
	s_cbranch_execz .LBB22_24
.LBB22_28:
	v_mad_u64_u32 v[17:18], null, v15, 31, v[13:14]
	s_waitcnt vmcnt(0)
	v_mad_u64_u32 v[20:21], null, v16, 31, v[18:19]
	v_mov_b32_e32 v18, v20
	v_lshrrev_b64 v[17:18], 5, v[17:18]
	v_lshlrev_b64 v[20:21], 2, v[17:18]
	v_add_co_u32 v20, vcc_lo, s2, v20
	v_add_co_ci_u32_e64 v21, null, s3, v21, vcc_lo
	global_load_dword v20, v[20:21], off
	v_add_co_u32 v21, vcc_lo, v17, 1
	v_add_co_ci_u32_e64 v22, null, 0, v18, vcc_lo
	s_waitcnt vmcnt(0)
	v_cmp_lt_i32_e32 vcc_lo, v20, v19
	v_cndmask_b32_e32 v14, v14, v22, vcc_lo
	v_cndmask_b32_e32 v13, v13, v21, vcc_lo
	v_cndmask_b32_e32 v16, v18, v16, vcc_lo
	v_cndmask_b32_e32 v15, v17, v15, vcc_lo
	s_or_b32 exec_lo, exec_lo, s0
	s_mov_b32 s0, exec_lo
	v_cmpx_lt_i64_e64 v[13:14], v[15:16]
	s_cbranch_execz .LBB22_25
.LBB22_29:
	v_mad_u64_u32 v[17:18], null, v15, 15, v[13:14]
	s_waitcnt vmcnt(0)
	v_mad_u64_u32 v[20:21], null, v16, 15, v[18:19]
	v_mov_b32_e32 v18, v20
	v_lshrrev_b64 v[17:18], 4, v[17:18]
	v_lshlrev_b64 v[20:21], 2, v[17:18]
	v_add_co_u32 v20, vcc_lo, s2, v20
	v_add_co_ci_u32_e64 v21, null, s3, v21, vcc_lo
	global_load_dword v20, v[20:21], off
	v_add_co_u32 v21, vcc_lo, v17, 1
	v_add_co_ci_u32_e64 v22, null, 0, v18, vcc_lo
	s_waitcnt vmcnt(0)
	v_cmp_lt_i32_e32 vcc_lo, v20, v19
	v_cndmask_b32_e32 v14, v14, v22, vcc_lo
	v_cndmask_b32_e32 v13, v13, v21, vcc_lo
	;; [unrolled: 1-line block ×4, first 2 shown]
	s_or_b32 exec_lo, exec_lo, s0
	s_mov_b32 s0, exec_lo
	v_cmpx_lt_i64_e64 v[13:14], v[15:16]
	s_cbranch_execz .LBB22_33
.LBB22_30:
	s_mov_b32 s6, 0
	.p2align	6
.LBB22_31:                              ; =>This Inner Loop Header: Depth=1
	v_add_co_u32 v17, vcc_lo, v13, v15
	v_add_co_ci_u32_e64 v18, null, v14, v16, vcc_lo
	v_lshrrev_b64 v[17:18], 1, v[17:18]
	v_lshlrev_b64 v[20:21], 2, v[17:18]
	v_add_co_u32 v20, vcc_lo, s2, v20
	v_add_co_ci_u32_e64 v21, null, s3, v21, vcc_lo
	global_load_dword v20, v[20:21], off
	v_add_co_u32 v21, vcc_lo, v17, 1
	v_add_co_ci_u32_e64 v22, null, 0, v18, vcc_lo
	s_waitcnt vmcnt(0)
	v_cmp_lt_i32_e32 vcc_lo, v20, v19
	v_cndmask_b32_e32 v14, v14, v22, vcc_lo
	v_cndmask_b32_e32 v13, v13, v21, vcc_lo
	;; [unrolled: 1-line block ×4, first 2 shown]
	v_cmp_ge_i64_e32 vcc_lo, v[13:14], v[15:16]
	s_or_b32 s6, vcc_lo, s6
	s_andn2_b32 exec_lo, exec_lo, s6
	s_cbranch_execnz .LBB22_31
; %bb.32:
	s_or_b32 exec_lo, exec_lo, s6
.LBB22_33:
	s_or_b32 exec_lo, exec_lo, s0
	v_sub_co_u32 v1, vcc_lo, v1, v7
	v_sub_co_ci_u32_e64 v2, null, v2, v8, vcc_lo
	v_sub_co_u32 v17, vcc_lo, v11, v13
	v_sub_co_ci_u32_e64 v18, null, v12, v14, vcc_lo
	s_mov_b32 s0, exec_lo
	v_add_co_u32 v15, vcc_lo, v17, v1
	v_add_co_ci_u32_e64 v16, null, v18, v2, vcc_lo
	v_ashrrev_i64 v[1:2], 1, v[15:16]
	v_cmp_gt_i64_e32 vcc_lo, v[1:2], v[17:18]
	v_cndmask_b32_e32 v1, v17, v1, vcc_lo
	v_cndmask_b32_e32 v2, v18, v2, vcc_lo
	v_add_co_u32 v13, vcc_lo, v13, v1
	v_add_co_ci_u32_e64 v14, null, v14, v2, vcc_lo
	v_add_co_u32 v13, vcc_lo, v13, 1
	v_add_co_ci_u32_e64 v14, null, 0, v14, vcc_lo
	v_cmp_gt_i64_e32 vcc_lo, s[10:11], v[13:14]
	v_cndmask_b32_e32 v13, s10, v13, vcc_lo
	v_cndmask_b32_e32 v14, s11, v14, vcc_lo
	v_sub_co_u32 v13, vcc_lo, v13, v11
	v_sub_co_ci_u32_e64 v14, null, v14, v12, vcc_lo
	v_mov_b32_e32 v11, 0
	v_mov_b32_e32 v12, 0
	v_cmpx_lt_i64_e32 0, v[13:14]
	s_cbranch_execz .LBB22_37
; %bb.34:
	v_mov_b32_e32 v11, 0
	v_mov_b32_e32 v12, 0
	s_mov_b32 s6, 0
	.p2align	6
.LBB22_35:                              ; =>This Inner Loop Header: Depth=1
	v_add_co_u32 v20, vcc_lo, v11, v13
	v_add_co_ci_u32_e64 v21, null, v12, v14, vcc_lo
	v_lshrrev_b64 v[20:21], 1, v[20:21]
	v_lshlrev_b64 v[22:23], 2, v[20:21]
	v_add_co_u32 v22, vcc_lo, v9, v22
	v_add_co_ci_u32_e64 v23, null, v10, v23, vcc_lo
	global_load_dword v22, v[22:23], off
	v_add_co_u32 v23, vcc_lo, v20, 1
	v_add_co_ci_u32_e64 v24, null, 0, v21, vcc_lo
	s_waitcnt vmcnt(0)
	v_cmp_lt_i32_e32 vcc_lo, v19, v22
	v_cndmask_b32_e32 v12, v24, v12, vcc_lo
	v_cndmask_b32_e32 v11, v23, v11, vcc_lo
	;; [unrolled: 1-line block ×4, first 2 shown]
	v_cmp_ge_i64_e32 vcc_lo, v[11:12], v[13:14]
	s_or_b32 s6, vcc_lo, s6
	s_andn2_b32 exec_lo, exec_lo, s6
	s_cbranch_execnz .LBB22_35
; %bb.36:
	s_or_b32 exec_lo, exec_lo, s6
	v_ashrrev_i32_e32 v12, 31, v11
.LBB22_37:
	s_or_b32 exec_lo, exec_lo, s0
	v_add_co_u32 v9, vcc_lo, v11, v17
	v_add_co_ci_u32_e64 v10, null, v12, v18, vcc_lo
	s_mov_b32 s6, 0
	v_cmp_lt_i64_e32 vcc_lo, v[9:10], v[1:2]
	v_cndmask_b32_e32 v13, v1, v9, vcc_lo
	v_cndmask_b32_e32 v14, v2, v10, vcc_lo
	v_sub_co_u32 v11, vcc_lo, v15, v13
	v_sub_co_ci_u32_e64 v12, null, v16, v14, vcc_lo
	v_add_co_u32 v13, vcc_lo, v13, 1
	v_add_co_ci_u32_e64 v14, null, 0, v14, vcc_lo
	v_cmp_lt_i64_e32 vcc_lo, v[1:2], v[9:10]
	v_mov_b32_e32 v10, s6
	v_cmp_eq_u64_e64 s0, v[11:12], v[13:14]
	s_and_b32 s0, s0, vcc_lo
	v_add_co_u32 v1, vcc_lo, v11, v7
	v_cndmask_b32_e64 v9, 0, 1, s0
	v_add_co_ci_u32_e64 v2, null, v12, v8, vcc_lo
.LBB22_38:
	s_or_b32 exec_lo, exec_lo, s5
	v_lshlrev_b64 v[3:4], 4, v[3:4]
	v_add_co_u32 v7, vcc_lo, v9, v5
	v_add_co_ci_u32_e64 v8, null, v10, v6, vcc_lo
	v_add_co_u32 v5, vcc_lo, s12, v3
	v_add_co_ci_u32_e64 v6, null, s13, v4, vcc_lo
	v_sub_co_u32 v3, vcc_lo, v7, v1
	v_sub_co_ci_u32_e64 v4, null, v8, v2, vcc_lo
	global_store_dwordx4 v[5:6], v[1:4], off
.LBB22_39:
	s_or_b32 exec_lo, exec_lo, s4
	s_cbranch_execnz .LBB22_2
.LBB22_40:
	v_add_nc_u32_e32 v2, s1, v0
	s_add_u32 s0, s10, s8
	s_addc_u32 s1, s11, s9
	v_mov_b32_e32 v3, 0
	v_mad_u64_u32 v[0:1], null, 0xfff, v2, 0
	v_cmp_lt_i64_e32 vcc_lo, s[0:1], v[0:1]
	v_cndmask_b32_e64 v4, v0, s0, vcc_lo
	v_cndmask_b32_e64 v5, v1, s1, vcc_lo
	s_mov_b32 s1, 0
	v_sub_co_u32 v0, vcc_lo, v4, s10
	v_subrev_co_ci_u32_e64 v1, null, s11, v5, vcc_lo
	v_cmp_lt_i64_e64 s0, s[8:9], v[4:5]
	v_cmp_lt_i64_e32 vcc_lo, 0, v[0:1]
	v_cndmask_b32_e64 v7, v5, s9, s0
	v_cndmask_b32_e64 v6, v4, s8, s0
	s_mov_b32 s0, exec_lo
	v_cndmask_b32_e32 v1, 0, v1, vcc_lo
	v_cndmask_b32_e32 v0, 0, v0, vcc_lo
	v_cmpx_lt_i64_e64 v[0:1], v[6:7]
	s_cbranch_execz .LBB22_44
; %bb.41:
	v_lshlrev_b64 v[8:9], 2, v[4:5]
	v_add_co_u32 v8, vcc_lo, s2, v8
	v_add_co_ci_u32_e64 v9, null, s3, v9, vcc_lo
	s_inst_prefetch 0x1
	.p2align	6
.LBB22_42:                              ; =>This Inner Loop Header: Depth=1
	v_add_co_u32 v10, vcc_lo, v6, v0
	v_add_co_ci_u32_e64 v11, null, v7, v1, vcc_lo
	v_lshrrev_b64 v[10:11], 1, v[10:11]
	v_lshlrev_b64 v[12:13], 2, v[10:11]
	v_xor_b32_e32 v14, -4, v12
	v_xor_b32_e32 v15, -1, v13
	v_add_co_u32 v12, vcc_lo, s14, v12
	v_add_co_ci_u32_e64 v13, null, s15, v13, vcc_lo
	v_add_co_u32 v14, vcc_lo, v8, v14
	v_add_co_ci_u32_e64 v15, null, v9, v15, vcc_lo
	global_load_dword v12, v[12:13], off
	global_load_dword v13, v[14:15], off
	v_add_co_u32 v14, vcc_lo, v10, 1
	v_add_co_ci_u32_e64 v15, null, 0, v11, vcc_lo
	s_waitcnt vmcnt(0)
	v_cmp_lt_i32_e32 vcc_lo, v13, v12
	v_cndmask_b32_e32 v7, v7, v11, vcc_lo
	v_cndmask_b32_e32 v6, v6, v10, vcc_lo
	;; [unrolled: 1-line block ×4, first 2 shown]
	v_cmp_ge_i64_e32 vcc_lo, v[0:1], v[6:7]
	s_or_b32 s1, vcc_lo, s1
	s_andn2_b32 exec_lo, exec_lo, s1
	s_cbranch_execnz .LBB22_42
; %bb.43:
	s_inst_prefetch 0x2
	s_or_b32 exec_lo, exec_lo, s1
.LBB22_44:
	s_or_b32 exec_lo, exec_lo, s0
	v_sub_co_u32 v10, vcc_lo, v4, v0
	v_mov_b32_e32 v8, 0
	v_sub_co_ci_u32_e64 v11, null, v5, v1, vcc_lo
	v_mov_b32_e32 v9, 0
	s_mov_b32 s1, exec_lo
	v_cmpx_gt_i64_e64 s[10:11], v[10:11]
	s_cbranch_execz .LBB22_74
; %bb.45:
	v_lshlrev_b64 v[6:7], 2, v[10:11]
	v_mov_b32_e32 v12, 0
	v_mov_b32_e32 v13, 0
	s_mov_b32 s0, exec_lo
	v_add_co_u32 v8, vcc_lo, s2, v6
	v_add_co_ci_u32_e64 v9, null, s3, v7, vcc_lo
	v_mov_b32_e32 v6, 0
	v_mov_b32_e32 v7, 0
	global_load_dword v18, v[8:9], off
	v_cmpx_lt_i64_e32 0, v[0:1]
	s_cbranch_execnz .LBB22_50
; %bb.46:
	s_or_b32 exec_lo, exec_lo, s0
	s_mov_b32 s0, exec_lo
	v_cmpx_lt_u64_e64 v[6:7], v[12:13]
	s_cbranch_execnz .LBB22_51
.LBB22_47:
	s_or_b32 exec_lo, exec_lo, s0
	s_mov_b32 s0, exec_lo
	v_cmpx_lt_u64_e64 v[6:7], v[12:13]
	s_cbranch_execnz .LBB22_52
.LBB22_48:
	s_or_b32 exec_lo, exec_lo, s0
	s_mov_b32 s0, exec_lo
	v_cmpx_lt_u64_e64 v[6:7], v[12:13]
	s_cbranch_execnz .LBB22_53
.LBB22_49:
	s_or_b32 exec_lo, exec_lo, s0
	s_mov_b32 s0, exec_lo
	v_cmpx_lt_u64_e64 v[6:7], v[12:13]
	s_cbranch_execnz .LBB22_54
	s_branch .LBB22_57
.LBB22_50:
	v_mad_u64_u32 v[6:7], null, 0x1ff, v0, 0
	v_mad_u64_u32 v[12:13], null, 0x1ff, v1, v[7:8]
	v_mov_b32_e32 v7, v12
	v_lshrrev_b64 v[12:13], 9, v[6:7]
	v_lshlrev_b64 v[6:7], 2, v[12:13]
	v_add_co_u32 v6, vcc_lo, s14, v6
	v_add_co_ci_u32_e64 v7, null, s15, v7, vcc_lo
	v_add_co_u32 v14, vcc_lo, v12, 1
	global_load_dword v6, v[6:7], off
	v_add_co_ci_u32_e64 v7, null, 0, v13, vcc_lo
	s_waitcnt vmcnt(0)
	v_cmp_lt_i32_e32 vcc_lo, v6, v18
	v_cndmask_b32_e32 v7, 0, v7, vcc_lo
	v_cndmask_b32_e32 v6, 0, v14, vcc_lo
	;; [unrolled: 1-line block ×4, first 2 shown]
	s_or_b32 exec_lo, exec_lo, s0
	s_mov_b32 s0, exec_lo
	v_cmpx_lt_u64_e64 v[6:7], v[12:13]
	s_cbranch_execz .LBB22_47
.LBB22_51:
	v_mad_u64_u32 v[14:15], null, 0x7f, v12, v[6:7]
	v_mad_u64_u32 v[15:16], null, 0x7f, v13, v[15:16]
	v_lshrrev_b64 v[14:15], 7, v[14:15]
	v_lshlrev_b64 v[16:17], 2, v[14:15]
	v_add_co_u32 v16, vcc_lo, s14, v16
	v_add_co_ci_u32_e64 v17, null, s15, v17, vcc_lo
	global_load_dword v16, v[16:17], off
	v_add_co_u32 v17, vcc_lo, v14, 1
	s_waitcnt vmcnt(2)
	v_add_co_ci_u32_e64 v19, null, 0, v15, vcc_lo
	s_waitcnt vmcnt(0)
	v_cmp_lt_i32_e32 vcc_lo, v16, v18
	v_cndmask_b32_e32 v7, v7, v19, vcc_lo
	v_cndmask_b32_e32 v6, v6, v17, vcc_lo
	;; [unrolled: 1-line block ×4, first 2 shown]
	s_or_b32 exec_lo, exec_lo, s0
	s_mov_b32 s0, exec_lo
	v_cmpx_lt_u64_e64 v[6:7], v[12:13]
	s_cbranch_execz .LBB22_48
.LBB22_52:
	v_mad_u64_u32 v[14:15], null, v12, 31, v[6:7]
	v_mad_u64_u32 v[15:16], null, v13, 31, v[15:16]
	v_lshrrev_b64 v[14:15], 5, v[14:15]
	v_lshlrev_b64 v[16:17], 2, v[14:15]
	v_add_co_u32 v16, vcc_lo, s14, v16
	v_add_co_ci_u32_e64 v17, null, s15, v17, vcc_lo
	global_load_dword v16, v[16:17], off
	v_add_co_u32 v17, vcc_lo, v14, 1
	s_waitcnt vmcnt(2)
	v_add_co_ci_u32_e64 v19, null, 0, v15, vcc_lo
	s_waitcnt vmcnt(0)
	v_cmp_lt_i32_e32 vcc_lo, v16, v18
	v_cndmask_b32_e32 v7, v7, v19, vcc_lo
	v_cndmask_b32_e32 v6, v6, v17, vcc_lo
	;; [unrolled: 1-line block ×4, first 2 shown]
	s_or_b32 exec_lo, exec_lo, s0
	s_mov_b32 s0, exec_lo
	v_cmpx_lt_u64_e64 v[6:7], v[12:13]
	s_cbranch_execz .LBB22_49
.LBB22_53:
	v_mad_u64_u32 v[14:15], null, v12, 15, v[6:7]
	v_mad_u64_u32 v[15:16], null, v13, 15, v[15:16]
	v_lshrrev_b64 v[14:15], 4, v[14:15]
	v_lshlrev_b64 v[16:17], 2, v[14:15]
	v_add_co_u32 v16, vcc_lo, s14, v16
	v_add_co_ci_u32_e64 v17, null, s15, v17, vcc_lo
	global_load_dword v16, v[16:17], off
	v_add_co_u32 v17, vcc_lo, v14, 1
	s_waitcnt vmcnt(2)
	v_add_co_ci_u32_e64 v19, null, 0, v15, vcc_lo
	s_waitcnt vmcnt(0)
	v_cmp_lt_i32_e32 vcc_lo, v16, v18
	v_cndmask_b32_e32 v7, v7, v19, vcc_lo
	v_cndmask_b32_e32 v6, v6, v17, vcc_lo
	;; [unrolled: 1-line block ×4, first 2 shown]
	s_or_b32 exec_lo, exec_lo, s0
	s_mov_b32 s0, exec_lo
	v_cmpx_lt_u64_e64 v[6:7], v[12:13]
	s_cbranch_execz .LBB22_57
.LBB22_54:
	s_mov_b32 s4, 0
	.p2align	6
.LBB22_55:                              ; =>This Inner Loop Header: Depth=1
	v_add_co_u32 v14, vcc_lo, v6, v12
	v_add_co_ci_u32_e64 v15, null, v7, v13, vcc_lo
	v_lshrrev_b64 v[14:15], 1, v[14:15]
	v_lshlrev_b64 v[16:17], 2, v[14:15]
	v_add_co_u32 v16, vcc_lo, s14, v16
	v_add_co_ci_u32_e64 v17, null, s15, v17, vcc_lo
	global_load_dword v16, v[16:17], off
	v_add_co_u32 v17, vcc_lo, v14, 1
	s_waitcnt vmcnt(2)
	v_add_co_ci_u32_e64 v19, null, 0, v15, vcc_lo
	s_waitcnt vmcnt(0)
	v_cmp_lt_i32_e32 vcc_lo, v16, v18
	v_cndmask_b32_e32 v7, v7, v19, vcc_lo
	v_cndmask_b32_e32 v6, v6, v17, vcc_lo
	v_cndmask_b32_e32 v13, v15, v13, vcc_lo
	v_cndmask_b32_e32 v12, v14, v12, vcc_lo
	v_cmp_ge_i64_e32 vcc_lo, v[6:7], v[12:13]
	s_or_b32 s4, vcc_lo, s4
	s_andn2_b32 exec_lo, exec_lo, s4
	s_cbranch_execnz .LBB22_55
; %bb.56:
	s_or_b32 exec_lo, exec_lo, s4
.LBB22_57:
	s_or_b32 exec_lo, exec_lo, s0
	v_mov_b32_e32 v12, 0
	v_mov_b32_e32 v15, v11
	;; [unrolled: 1-line block ×4, first 2 shown]
	s_mov_b32 s0, exec_lo
	v_cmpx_lt_i64_e32 0, v[10:11]
	s_cbranch_execnz .LBB22_62
; %bb.58:
	s_or_b32 exec_lo, exec_lo, s0
	s_mov_b32 s0, exec_lo
	v_cmpx_lt_i64_e64 v[12:13], v[14:15]
	s_cbranch_execnz .LBB22_63
.LBB22_59:
	s_or_b32 exec_lo, exec_lo, s0
	s_mov_b32 s0, exec_lo
	v_cmpx_lt_i64_e64 v[12:13], v[14:15]
	s_cbranch_execnz .LBB22_64
.LBB22_60:
	s_or_b32 exec_lo, exec_lo, s0
	s_mov_b32 s0, exec_lo
	v_cmpx_lt_i64_e64 v[12:13], v[14:15]
	s_cbranch_execnz .LBB22_65
.LBB22_61:
	s_or_b32 exec_lo, exec_lo, s0
	s_mov_b32 s0, exec_lo
	v_cmpx_lt_i64_e64 v[12:13], v[14:15]
	s_cbranch_execnz .LBB22_66
	s_branch .LBB22_69
.LBB22_62:
	v_mad_u64_u32 v[12:13], null, 0x1ff, v10, 0
	v_mad_u64_u32 v[13:14], null, 0x1ff, v11, v[13:14]
	v_lshrrev_b64 v[14:15], 9, v[12:13]
	v_lshlrev_b64 v[12:13], 2, v[14:15]
	v_add_co_u32 v12, vcc_lo, s2, v12
	v_add_co_ci_u32_e64 v13, null, s3, v13, vcc_lo
	v_add_co_u32 v16, vcc_lo, v14, 1
	global_load_dword v12, v[12:13], off
	v_add_co_ci_u32_e64 v13, null, 0, v15, vcc_lo
	s_waitcnt vmcnt(0)
	v_cmp_lt_i32_e32 vcc_lo, v12, v18
	v_cndmask_b32_e32 v13, 0, v13, vcc_lo
	v_cndmask_b32_e32 v12, 0, v16, vcc_lo
	;; [unrolled: 1-line block ×4, first 2 shown]
	s_or_b32 exec_lo, exec_lo, s0
	s_mov_b32 s0, exec_lo
	v_cmpx_lt_i64_e64 v[12:13], v[14:15]
	s_cbranch_execz .LBB22_59
.LBB22_63:
	v_mad_u64_u32 v[16:17], null, 0x7f, v14, v[12:13]
	s_waitcnt vmcnt(0)
	v_mad_u64_u32 v[19:20], null, 0x7f, v15, v[17:18]
	v_mov_b32_e32 v17, v19
	v_lshrrev_b64 v[16:17], 7, v[16:17]
	v_lshlrev_b64 v[19:20], 2, v[16:17]
	v_add_co_u32 v19, vcc_lo, s2, v19
	v_add_co_ci_u32_e64 v20, null, s3, v20, vcc_lo
	global_load_dword v19, v[19:20], off
	v_add_co_u32 v20, vcc_lo, v16, 1
	v_add_co_ci_u32_e64 v21, null, 0, v17, vcc_lo
	s_waitcnt vmcnt(0)
	v_cmp_lt_i32_e32 vcc_lo, v19, v18
	v_cndmask_b32_e32 v13, v13, v21, vcc_lo
	v_cndmask_b32_e32 v12, v12, v20, vcc_lo
	;; [unrolled: 1-line block ×4, first 2 shown]
	s_or_b32 exec_lo, exec_lo, s0
	s_mov_b32 s0, exec_lo
	v_cmpx_lt_i64_e64 v[12:13], v[14:15]
	s_cbranch_execz .LBB22_60
.LBB22_64:
	v_mad_u64_u32 v[16:17], null, v14, 31, v[12:13]
	s_waitcnt vmcnt(0)
	v_mad_u64_u32 v[19:20], null, v15, 31, v[17:18]
	v_mov_b32_e32 v17, v19
	v_lshrrev_b64 v[16:17], 5, v[16:17]
	v_lshlrev_b64 v[19:20], 2, v[16:17]
	v_add_co_u32 v19, vcc_lo, s2, v19
	v_add_co_ci_u32_e64 v20, null, s3, v20, vcc_lo
	global_load_dword v19, v[19:20], off
	v_add_co_u32 v20, vcc_lo, v16, 1
	v_add_co_ci_u32_e64 v21, null, 0, v17, vcc_lo
	s_waitcnt vmcnt(0)
	v_cmp_lt_i32_e32 vcc_lo, v19, v18
	v_cndmask_b32_e32 v13, v13, v21, vcc_lo
	v_cndmask_b32_e32 v12, v12, v20, vcc_lo
	;; [unrolled: 1-line block ×4, first 2 shown]
	s_or_b32 exec_lo, exec_lo, s0
	s_mov_b32 s0, exec_lo
	v_cmpx_lt_i64_e64 v[12:13], v[14:15]
	s_cbranch_execz .LBB22_61
.LBB22_65:
	v_mad_u64_u32 v[16:17], null, v14, 15, v[12:13]
	s_waitcnt vmcnt(0)
	v_mad_u64_u32 v[19:20], null, v15, 15, v[17:18]
	v_mov_b32_e32 v17, v19
	v_lshrrev_b64 v[16:17], 4, v[16:17]
	v_lshlrev_b64 v[19:20], 2, v[16:17]
	v_add_co_u32 v19, vcc_lo, s2, v19
	v_add_co_ci_u32_e64 v20, null, s3, v20, vcc_lo
	global_load_dword v19, v[19:20], off
	v_add_co_u32 v20, vcc_lo, v16, 1
	v_add_co_ci_u32_e64 v21, null, 0, v17, vcc_lo
	s_waitcnt vmcnt(0)
	v_cmp_lt_i32_e32 vcc_lo, v19, v18
	v_cndmask_b32_e32 v13, v13, v21, vcc_lo
	v_cndmask_b32_e32 v12, v12, v20, vcc_lo
	;; [unrolled: 1-line block ×4, first 2 shown]
	s_or_b32 exec_lo, exec_lo, s0
	s_mov_b32 s0, exec_lo
	v_cmpx_lt_i64_e64 v[12:13], v[14:15]
	s_cbranch_execz .LBB22_69
.LBB22_66:
	s_mov_b32 s4, 0
	.p2align	6
.LBB22_67:                              ; =>This Inner Loop Header: Depth=1
	v_add_co_u32 v16, vcc_lo, v12, v14
	v_add_co_ci_u32_e64 v17, null, v13, v15, vcc_lo
	v_lshrrev_b64 v[16:17], 1, v[16:17]
	s_waitcnt vmcnt(1)
	v_lshlrev_b64 v[19:20], 2, v[16:17]
	v_add_co_u32 v19, vcc_lo, s2, v19
	v_add_co_ci_u32_e64 v20, null, s3, v20, vcc_lo
	global_load_dword v19, v[19:20], off
	v_add_co_u32 v20, vcc_lo, v16, 1
	v_add_co_ci_u32_e64 v21, null, 0, v17, vcc_lo
	s_waitcnt vmcnt(0)
	v_cmp_lt_i32_e32 vcc_lo, v19, v18
	v_cndmask_b32_e32 v13, v13, v21, vcc_lo
	v_cndmask_b32_e32 v12, v12, v20, vcc_lo
	;; [unrolled: 1-line block ×4, first 2 shown]
	v_cmp_ge_i64_e32 vcc_lo, v[12:13], v[14:15]
	s_or_b32 s4, vcc_lo, s4
	s_andn2_b32 exec_lo, exec_lo, s4
	s_cbranch_execnz .LBB22_67
; %bb.68:
	s_or_b32 exec_lo, exec_lo, s4
.LBB22_69:
	s_or_b32 exec_lo, exec_lo, s0
	v_sub_co_u32 v0, vcc_lo, v0, v6
	v_sub_co_ci_u32_e64 v1, null, v1, v7, vcc_lo
	v_sub_co_u32 v16, vcc_lo, v10, v12
	v_sub_co_ci_u32_e64 v17, null, v11, v13, vcc_lo
	s_mov_b32 s0, exec_lo
	v_add_co_u32 v14, vcc_lo, v16, v0
	v_add_co_ci_u32_e64 v15, null, v17, v1, vcc_lo
	v_ashrrev_i64 v[0:1], 1, v[14:15]
	v_cmp_gt_i64_e32 vcc_lo, v[0:1], v[16:17]
	v_cndmask_b32_e32 v0, v16, v0, vcc_lo
	v_cndmask_b32_e32 v1, v17, v1, vcc_lo
	v_add_co_u32 v12, vcc_lo, v12, v0
	v_add_co_ci_u32_e64 v13, null, v13, v1, vcc_lo
	v_add_co_u32 v12, vcc_lo, v12, 1
	v_add_co_ci_u32_e64 v13, null, 0, v13, vcc_lo
	v_cmp_gt_i64_e32 vcc_lo, s[10:11], v[12:13]
	v_cndmask_b32_e32 v12, s10, v12, vcc_lo
	v_cndmask_b32_e32 v13, s11, v13, vcc_lo
	v_sub_co_u32 v12, vcc_lo, v12, v10
	v_sub_co_ci_u32_e64 v13, null, v13, v11, vcc_lo
	v_mov_b32_e32 v10, 0
	v_mov_b32_e32 v11, 0
	v_cmpx_lt_i64_e32 0, v[12:13]
	s_cbranch_execz .LBB22_73
; %bb.70:
	v_mov_b32_e32 v10, 0
	v_mov_b32_e32 v11, 0
	s_mov_b32 s2, 0
	.p2align	6
.LBB22_71:                              ; =>This Inner Loop Header: Depth=1
	s_waitcnt vmcnt(1)
	v_add_co_u32 v19, vcc_lo, v10, v12
	v_add_co_ci_u32_e64 v20, null, v11, v13, vcc_lo
	v_lshrrev_b64 v[19:20], 1, v[19:20]
	v_lshlrev_b64 v[21:22], 2, v[19:20]
	v_add_co_u32 v21, vcc_lo, v8, v21
	v_add_co_ci_u32_e64 v22, null, v9, v22, vcc_lo
	global_load_dword v21, v[21:22], off
	v_add_co_u32 v22, vcc_lo, v19, 1
	v_add_co_ci_u32_e64 v23, null, 0, v20, vcc_lo
	s_waitcnt vmcnt(0)
	v_cmp_lt_i32_e32 vcc_lo, v18, v21
	v_cndmask_b32_e32 v11, v23, v11, vcc_lo
	v_cndmask_b32_e32 v10, v22, v10, vcc_lo
	;; [unrolled: 1-line block ×4, first 2 shown]
	v_cmp_ge_i64_e32 vcc_lo, v[10:11], v[12:13]
	s_or_b32 s2, vcc_lo, s2
	s_andn2_b32 exec_lo, exec_lo, s2
	s_cbranch_execnz .LBB22_71
; %bb.72:
	s_or_b32 exec_lo, exec_lo, s2
	v_ashrrev_i32_e32 v11, 31, v10
.LBB22_73:
	s_or_b32 exec_lo, exec_lo, s0
	v_add_co_u32 v8, vcc_lo, v10, v16
	v_add_co_ci_u32_e64 v9, null, v11, v17, vcc_lo
	s_mov_b32 s2, 0
	v_cmp_lt_i64_e32 vcc_lo, v[8:9], v[0:1]
	v_cndmask_b32_e32 v12, v0, v8, vcc_lo
	v_cndmask_b32_e32 v13, v1, v9, vcc_lo
	v_sub_co_u32 v10, vcc_lo, v14, v12
	v_sub_co_ci_u32_e64 v11, null, v15, v13, vcc_lo
	v_add_co_u32 v12, vcc_lo, v12, 1
	v_add_co_ci_u32_e64 v13, null, 0, v13, vcc_lo
	v_cmp_lt_i64_e32 vcc_lo, v[0:1], v[8:9]
	v_mov_b32_e32 v9, s2
	v_cmp_eq_u64_e64 s0, v[10:11], v[12:13]
	s_and_b32 s0, s0, vcc_lo
	v_add_co_u32 v0, vcc_lo, v10, v6
	v_cndmask_b32_e64 v8, 0, 1, s0
	v_add_co_ci_u32_e64 v1, null, v11, v7, vcc_lo
.LBB22_74:
	s_or_b32 exec_lo, exec_lo, s1
	v_lshlrev_b64 v[2:3], 4, v[2:3]
	v_add_co_u32 v6, vcc_lo, v8, v4
	v_add_co_ci_u32_e64 v7, null, v9, v5, vcc_lo
	v_add_co_u32 v4, vcc_lo, s12, v2
	v_add_co_ci_u32_e64 v5, null, s13, v3, vcc_lo
	v_sub_co_u32 v2, vcc_lo, v6, v0
	v_sub_co_ci_u32_e64 v3, null, v7, v1, vcc_lo
	global_store_dwordx4 v[4:5], v[0:3], off
	s_endpgm
	.section	.rodata,"a",@progbits
	.p2align	6, 0x0
	.amdhsa_kernel _ZN6thrust23THRUST_200600_302600_NS11hip_rocprim14__parallel_for6kernelILj256EZNS1_16__set_operations9doit_stepILb0ENS0_6detail15normal_iteratorINS0_10device_ptrIKiEEEESB_PiSC_lNS7_INS8_IiEEEESC_NS0_4lessIiEENS4_23serial_set_intersectionEEE10hipError_tPvRmT0_T1_T2_T3_T4_SP_T5_T6_PSP_T7_T8_P12ihipStream_tbEUllE_jLj1EEEvSL_SM_SM_
		.amdhsa_group_segment_fixed_size 0
		.amdhsa_private_segment_fixed_size 0
		.amdhsa_kernarg_size 56
		.amdhsa_user_sgpr_count 6
		.amdhsa_user_sgpr_private_segment_buffer 1
		.amdhsa_user_sgpr_dispatch_ptr 0
		.amdhsa_user_sgpr_queue_ptr 0
		.amdhsa_user_sgpr_kernarg_segment_ptr 1
		.amdhsa_user_sgpr_dispatch_id 0
		.amdhsa_user_sgpr_flat_scratch_init 0
		.amdhsa_user_sgpr_private_segment_size 0
		.amdhsa_wavefront_size32 1
		.amdhsa_uses_dynamic_stack 0
		.amdhsa_system_sgpr_private_segment_wavefront_offset 0
		.amdhsa_system_sgpr_workgroup_id_x 1
		.amdhsa_system_sgpr_workgroup_id_y 0
		.amdhsa_system_sgpr_workgroup_id_z 0
		.amdhsa_system_sgpr_workgroup_info 0
		.amdhsa_system_vgpr_workitem_id 0
		.amdhsa_next_free_vgpr 25
		.amdhsa_next_free_sgpr 16
		.amdhsa_reserve_vcc 1
		.amdhsa_reserve_flat_scratch 0
		.amdhsa_float_round_mode_32 0
		.amdhsa_float_round_mode_16_64 0
		.amdhsa_float_denorm_mode_32 3
		.amdhsa_float_denorm_mode_16_64 3
		.amdhsa_dx10_clamp 1
		.amdhsa_ieee_mode 1
		.amdhsa_fp16_overflow 0
		.amdhsa_workgroup_processor_mode 1
		.amdhsa_memory_ordered 1
		.amdhsa_forward_progress 1
		.amdhsa_shared_vgpr_count 0
		.amdhsa_exception_fp_ieee_invalid_op 0
		.amdhsa_exception_fp_denorm_src 0
		.amdhsa_exception_fp_ieee_div_zero 0
		.amdhsa_exception_fp_ieee_overflow 0
		.amdhsa_exception_fp_ieee_underflow 0
		.amdhsa_exception_fp_ieee_inexact 0
		.amdhsa_exception_int_div_zero 0
	.end_amdhsa_kernel
	.section	.text._ZN6thrust23THRUST_200600_302600_NS11hip_rocprim14__parallel_for6kernelILj256EZNS1_16__set_operations9doit_stepILb0ENS0_6detail15normal_iteratorINS0_10device_ptrIKiEEEESB_PiSC_lNS7_INS8_IiEEEESC_NS0_4lessIiEENS4_23serial_set_intersectionEEE10hipError_tPvRmT0_T1_T2_T3_T4_SP_T5_T6_PSP_T7_T8_P12ihipStream_tbEUllE_jLj1EEEvSL_SM_SM_,"axG",@progbits,_ZN6thrust23THRUST_200600_302600_NS11hip_rocprim14__parallel_for6kernelILj256EZNS1_16__set_operations9doit_stepILb0ENS0_6detail15normal_iteratorINS0_10device_ptrIKiEEEESB_PiSC_lNS7_INS8_IiEEEESC_NS0_4lessIiEENS4_23serial_set_intersectionEEE10hipError_tPvRmT0_T1_T2_T3_T4_SP_T5_T6_PSP_T7_T8_P12ihipStream_tbEUllE_jLj1EEEvSL_SM_SM_,comdat
.Lfunc_end22:
	.size	_ZN6thrust23THRUST_200600_302600_NS11hip_rocprim14__parallel_for6kernelILj256EZNS1_16__set_operations9doit_stepILb0ENS0_6detail15normal_iteratorINS0_10device_ptrIKiEEEESB_PiSC_lNS7_INS8_IiEEEESC_NS0_4lessIiEENS4_23serial_set_intersectionEEE10hipError_tPvRmT0_T1_T2_T3_T4_SP_T5_T6_PSP_T7_T8_P12ihipStream_tbEUllE_jLj1EEEvSL_SM_SM_, .Lfunc_end22-_ZN6thrust23THRUST_200600_302600_NS11hip_rocprim14__parallel_for6kernelILj256EZNS1_16__set_operations9doit_stepILb0ENS0_6detail15normal_iteratorINS0_10device_ptrIKiEEEESB_PiSC_lNS7_INS8_IiEEEESC_NS0_4lessIiEENS4_23serial_set_intersectionEEE10hipError_tPvRmT0_T1_T2_T3_T4_SP_T5_T6_PSP_T7_T8_P12ihipStream_tbEUllE_jLj1EEEvSL_SM_SM_
                                        ; -- End function
	.set _ZN6thrust23THRUST_200600_302600_NS11hip_rocprim14__parallel_for6kernelILj256EZNS1_16__set_operations9doit_stepILb0ENS0_6detail15normal_iteratorINS0_10device_ptrIKiEEEESB_PiSC_lNS7_INS8_IiEEEESC_NS0_4lessIiEENS4_23serial_set_intersectionEEE10hipError_tPvRmT0_T1_T2_T3_T4_SP_T5_T6_PSP_T7_T8_P12ihipStream_tbEUllE_jLj1EEEvSL_SM_SM_.num_vgpr, 25
	.set _ZN6thrust23THRUST_200600_302600_NS11hip_rocprim14__parallel_for6kernelILj256EZNS1_16__set_operations9doit_stepILb0ENS0_6detail15normal_iteratorINS0_10device_ptrIKiEEEESB_PiSC_lNS7_INS8_IiEEEESC_NS0_4lessIiEENS4_23serial_set_intersectionEEE10hipError_tPvRmT0_T1_T2_T3_T4_SP_T5_T6_PSP_T7_T8_P12ihipStream_tbEUllE_jLj1EEEvSL_SM_SM_.num_agpr, 0
	.set _ZN6thrust23THRUST_200600_302600_NS11hip_rocprim14__parallel_for6kernelILj256EZNS1_16__set_operations9doit_stepILb0ENS0_6detail15normal_iteratorINS0_10device_ptrIKiEEEESB_PiSC_lNS7_INS8_IiEEEESC_NS0_4lessIiEENS4_23serial_set_intersectionEEE10hipError_tPvRmT0_T1_T2_T3_T4_SP_T5_T6_PSP_T7_T8_P12ihipStream_tbEUllE_jLj1EEEvSL_SM_SM_.numbered_sgpr, 16
	.set _ZN6thrust23THRUST_200600_302600_NS11hip_rocprim14__parallel_for6kernelILj256EZNS1_16__set_operations9doit_stepILb0ENS0_6detail15normal_iteratorINS0_10device_ptrIKiEEEESB_PiSC_lNS7_INS8_IiEEEESC_NS0_4lessIiEENS4_23serial_set_intersectionEEE10hipError_tPvRmT0_T1_T2_T3_T4_SP_T5_T6_PSP_T7_T8_P12ihipStream_tbEUllE_jLj1EEEvSL_SM_SM_.num_named_barrier, 0
	.set _ZN6thrust23THRUST_200600_302600_NS11hip_rocprim14__parallel_for6kernelILj256EZNS1_16__set_operations9doit_stepILb0ENS0_6detail15normal_iteratorINS0_10device_ptrIKiEEEESB_PiSC_lNS7_INS8_IiEEEESC_NS0_4lessIiEENS4_23serial_set_intersectionEEE10hipError_tPvRmT0_T1_T2_T3_T4_SP_T5_T6_PSP_T7_T8_P12ihipStream_tbEUllE_jLj1EEEvSL_SM_SM_.private_seg_size, 0
	.set _ZN6thrust23THRUST_200600_302600_NS11hip_rocprim14__parallel_for6kernelILj256EZNS1_16__set_operations9doit_stepILb0ENS0_6detail15normal_iteratorINS0_10device_ptrIKiEEEESB_PiSC_lNS7_INS8_IiEEEESC_NS0_4lessIiEENS4_23serial_set_intersectionEEE10hipError_tPvRmT0_T1_T2_T3_T4_SP_T5_T6_PSP_T7_T8_P12ihipStream_tbEUllE_jLj1EEEvSL_SM_SM_.uses_vcc, 1
	.set _ZN6thrust23THRUST_200600_302600_NS11hip_rocprim14__parallel_for6kernelILj256EZNS1_16__set_operations9doit_stepILb0ENS0_6detail15normal_iteratorINS0_10device_ptrIKiEEEESB_PiSC_lNS7_INS8_IiEEEESC_NS0_4lessIiEENS4_23serial_set_intersectionEEE10hipError_tPvRmT0_T1_T2_T3_T4_SP_T5_T6_PSP_T7_T8_P12ihipStream_tbEUllE_jLj1EEEvSL_SM_SM_.uses_flat_scratch, 0
	.set _ZN6thrust23THRUST_200600_302600_NS11hip_rocprim14__parallel_for6kernelILj256EZNS1_16__set_operations9doit_stepILb0ENS0_6detail15normal_iteratorINS0_10device_ptrIKiEEEESB_PiSC_lNS7_INS8_IiEEEESC_NS0_4lessIiEENS4_23serial_set_intersectionEEE10hipError_tPvRmT0_T1_T2_T3_T4_SP_T5_T6_PSP_T7_T8_P12ihipStream_tbEUllE_jLj1EEEvSL_SM_SM_.has_dyn_sized_stack, 0
	.set _ZN6thrust23THRUST_200600_302600_NS11hip_rocprim14__parallel_for6kernelILj256EZNS1_16__set_operations9doit_stepILb0ENS0_6detail15normal_iteratorINS0_10device_ptrIKiEEEESB_PiSC_lNS7_INS8_IiEEEESC_NS0_4lessIiEENS4_23serial_set_intersectionEEE10hipError_tPvRmT0_T1_T2_T3_T4_SP_T5_T6_PSP_T7_T8_P12ihipStream_tbEUllE_jLj1EEEvSL_SM_SM_.has_recursion, 0
	.set _ZN6thrust23THRUST_200600_302600_NS11hip_rocprim14__parallel_for6kernelILj256EZNS1_16__set_operations9doit_stepILb0ENS0_6detail15normal_iteratorINS0_10device_ptrIKiEEEESB_PiSC_lNS7_INS8_IiEEEESC_NS0_4lessIiEENS4_23serial_set_intersectionEEE10hipError_tPvRmT0_T1_T2_T3_T4_SP_T5_T6_PSP_T7_T8_P12ihipStream_tbEUllE_jLj1EEEvSL_SM_SM_.has_indirect_call, 0
	.section	.AMDGPU.csdata,"",@progbits
; Kernel info:
; codeLenInByte = 4980
; TotalNumSgprs: 18
; NumVgprs: 25
; ScratchSize: 0
; MemoryBound: 0
; FloatMode: 240
; IeeeMode: 1
; LDSByteSize: 0 bytes/workgroup (compile time only)
; SGPRBlocks: 0
; VGPRBlocks: 3
; NumSGPRsForWavesPerEU: 18
; NumVGPRsForWavesPerEU: 25
; Occupancy: 16
; WaveLimiterHint : 0
; COMPUTE_PGM_RSRC2:SCRATCH_EN: 0
; COMPUTE_PGM_RSRC2:USER_SGPR: 6
; COMPUTE_PGM_RSRC2:TRAP_HANDLER: 0
; COMPUTE_PGM_RSRC2:TGID_X_EN: 1
; COMPUTE_PGM_RSRC2:TGID_Y_EN: 0
; COMPUTE_PGM_RSRC2:TGID_Z_EN: 0
; COMPUTE_PGM_RSRC2:TIDIG_COMP_CNT: 0
	.section	.text._ZN6thrust23THRUST_200600_302600_NS11hip_rocprim16__set_operations22lookback_set_op_kernelIN7rocprim17ROCPRIM_400000_NS13kernel_configILj256ELj16ELj4294967295EEELb0ENS0_6detail15normal_iteratorINS0_10device_ptrIKiEEEESD_PiSE_lNS9_INSA_IiEEEESE_NS0_4lessIiEENS2_23serial_set_intersectionENS5_6detail19lookback_scan_stateIlLb0ELb1EEEEEvT1_T2_T3_T4_T6_T7_T8_T9_PNS0_4pairIT5_SW_EEPSW_T10_NSK_16ordered_block_idIjEE,"axG",@progbits,_ZN6thrust23THRUST_200600_302600_NS11hip_rocprim16__set_operations22lookback_set_op_kernelIN7rocprim17ROCPRIM_400000_NS13kernel_configILj256ELj16ELj4294967295EEELb0ENS0_6detail15normal_iteratorINS0_10device_ptrIKiEEEESD_PiSE_lNS9_INSA_IiEEEESE_NS0_4lessIiEENS2_23serial_set_intersectionENS5_6detail19lookback_scan_stateIlLb0ELb1EEEEEvT1_T2_T3_T4_T6_T7_T8_T9_PNS0_4pairIT5_SW_EEPSW_T10_NSK_16ordered_block_idIjEE,comdat
	.protected	_ZN6thrust23THRUST_200600_302600_NS11hip_rocprim16__set_operations22lookback_set_op_kernelIN7rocprim17ROCPRIM_400000_NS13kernel_configILj256ELj16ELj4294967295EEELb0ENS0_6detail15normal_iteratorINS0_10device_ptrIKiEEEESD_PiSE_lNS9_INSA_IiEEEESE_NS0_4lessIiEENS2_23serial_set_intersectionENS5_6detail19lookback_scan_stateIlLb0ELb1EEEEEvT1_T2_T3_T4_T6_T7_T8_T9_PNS0_4pairIT5_SW_EEPSW_T10_NSK_16ordered_block_idIjEE ; -- Begin function _ZN6thrust23THRUST_200600_302600_NS11hip_rocprim16__set_operations22lookback_set_op_kernelIN7rocprim17ROCPRIM_400000_NS13kernel_configILj256ELj16ELj4294967295EEELb0ENS0_6detail15normal_iteratorINS0_10device_ptrIKiEEEESD_PiSE_lNS9_INSA_IiEEEESE_NS0_4lessIiEENS2_23serial_set_intersectionENS5_6detail19lookback_scan_stateIlLb0ELb1EEEEEvT1_T2_T3_T4_T6_T7_T8_T9_PNS0_4pairIT5_SW_EEPSW_T10_NSK_16ordered_block_idIjEE
	.globl	_ZN6thrust23THRUST_200600_302600_NS11hip_rocprim16__set_operations22lookback_set_op_kernelIN7rocprim17ROCPRIM_400000_NS13kernel_configILj256ELj16ELj4294967295EEELb0ENS0_6detail15normal_iteratorINS0_10device_ptrIKiEEEESD_PiSE_lNS9_INSA_IiEEEESE_NS0_4lessIiEENS2_23serial_set_intersectionENS5_6detail19lookback_scan_stateIlLb0ELb1EEEEEvT1_T2_T3_T4_T6_T7_T8_T9_PNS0_4pairIT5_SW_EEPSW_T10_NSK_16ordered_block_idIjEE
	.p2align	8
	.type	_ZN6thrust23THRUST_200600_302600_NS11hip_rocprim16__set_operations22lookback_set_op_kernelIN7rocprim17ROCPRIM_400000_NS13kernel_configILj256ELj16ELj4294967295EEELb0ENS0_6detail15normal_iteratorINS0_10device_ptrIKiEEEESD_PiSE_lNS9_INSA_IiEEEESE_NS0_4lessIiEENS2_23serial_set_intersectionENS5_6detail19lookback_scan_stateIlLb0ELb1EEEEEvT1_T2_T3_T4_T6_T7_T8_T9_PNS0_4pairIT5_SW_EEPSW_T10_NSK_16ordered_block_idIjEE,@function
_ZN6thrust23THRUST_200600_302600_NS11hip_rocprim16__set_operations22lookback_set_op_kernelIN7rocprim17ROCPRIM_400000_NS13kernel_configILj256ELj16ELj4294967295EEELb0ENS0_6detail15normal_iteratorINS0_10device_ptrIKiEEEESD_PiSE_lNS9_INSA_IiEEEESE_NS0_4lessIiEENS2_23serial_set_intersectionENS5_6detail19lookback_scan_stateIlLb0ELb1EEEEEvT1_T2_T3_T4_T6_T7_T8_T9_PNS0_4pairIT5_SW_EEPSW_T10_NSK_16ordered_block_idIjEE: ; @_ZN6thrust23THRUST_200600_302600_NS11hip_rocprim16__set_operations22lookback_set_op_kernelIN7rocprim17ROCPRIM_400000_NS13kernel_configILj256ELj16ELj4294967295EEELb0ENS0_6detail15normal_iteratorINS0_10device_ptrIKiEEEESD_PiSE_lNS9_INSA_IiEEEESE_NS0_4lessIiEENS2_23serial_set_intersectionENS5_6detail19lookback_scan_stateIlLb0ELb1EEEEEvT1_T2_T3_T4_T6_T7_T8_T9_PNS0_4pairIT5_SW_EEPSW_T10_NSK_16ordered_block_idIjEE
; %bb.0:
	s_clause 0x2
	s_load_dword s1, s[4:5], 0x64
	s_load_dword s0, s[4:5], 0x58
	s_load_dwordx8 s[16:23], s[4:5], 0x38
	s_waitcnt lgkmcnt(0)
	s_lshr_b32 s2, s1, 16
	s_and_b32 s1, s1, 0xffff
	v_mad_u32_u24 v1, v2, s2, v1
	v_sub_nc_u32_e32 v2, 0, v0
	v_mul_lo_u32 v1, v1, s1
	s_mov_b32 s1, exec_lo
	v_cmpx_eq_u32_e64 v1, v2
	s_cbranch_execz .LBB23_4
; %bb.1:
	s_mov_b32 s3, exec_lo
	s_mov_b32 s2, exec_lo
	v_mbcnt_lo_u32_b32 v1, s3, 0
                                        ; implicit-def: $vgpr2
	v_cmpx_eq_u32_e32 0, v1
	s_cbranch_execz .LBB23_3
; %bb.2:
	s_bcnt1_i32_b32 s3, s3
	v_mov_b32_e32 v2, 0
	v_mov_b32_e32 v3, s3
	global_atomic_add v2, v2, v3, s[22:23] glc
.LBB23_3:
	s_or_b32 exec_lo, exec_lo, s2
	s_waitcnt vmcnt(0)
	v_readfirstlane_b32 s2, v2
	v_mov_b32_e32 v2, 0
	v_add_nc_u32_e32 v1, s2, v1
	ds_write_b32 v2, v1 offset:36864
.LBB23_4:
	s_or_b32 exec_lo, exec_lo, s1
	v_mov_b32_e32 v1, 0
	s_waitcnt lgkmcnt(0)
	s_barrier
	buffer_gl0_inv
	s_add_i32 s6, s0, -1
	ds_read_b32 v10, v1 offset:36864
	s_load_dwordx2 s[22:23], s[4:5], 0x20
	s_waitcnt lgkmcnt(0)
	v_readfirstlane_b32 s24, v10
	v_cmp_le_i32_e32 vcc_lo, s6, v10
	s_ashr_i32 s25, s24, 31
	s_lshl_b64 s[2:3], s[24:25], 4
	s_add_u32 s0, s16, s2
	s_addc_u32 s1, s17, s3
	s_clause 0x1
	global_load_dwordx4 v[2:5], v1, s[0:1]
	global_load_dwordx4 v[6:9], v1, s[0:1] offset:16
	s_load_dwordx4 s[0:3], s[4:5], 0x0
	s_and_b32 vcc_lo, exec_lo, vcc_lo
	s_waitcnt vmcnt(1)
	v_readfirstlane_b32 s7, v2
	s_waitcnt vmcnt(0)
	v_sub_nc_u32_e32 v17, v8, v4
	v_lshlrev_b64 v[4:5], 2, v[4:5]
	v_readfirstlane_b32 s4, v6
	v_mov_b32_e32 v2, s7
	s_sub_i32 s25, s4, s7
	v_lshlrev_b64 v[2:3], 2, v[2:3]
	s_waitcnt lgkmcnt(0)
	v_add_co_u32 v20, s0, s0, v2
	v_add_co_ci_u32_e64 v21, null, s1, v3, s0
	v_add_co_u32 v18, s0, s2, v4
	v_add_co_ci_u32_e64 v19, null, s3, v5, s0
	s_mov_b32 s0, -1
	s_cbranch_vccz .LBB23_251
; %bb.5:
	v_add_nc_u32_e32 v3, s25, v17
	v_mov_b32_e32 v2, v1
	v_mov_b32_e32 v4, v1
	;; [unrolled: 1-line block ×15, first 2 shown]
	s_mov_b32 s0, exec_lo
	v_cmpx_lt_i32_e64 v0, v3
	s_cbranch_execz .LBB23_7
; %bb.6:
	v_mov_b32_e32 v2, 0
	v_subrev_nc_u32_e32 v1, s25, v0
	v_lshlrev_b32_e32 v6, 2, v0
	v_mov_b32_e32 v7, v2
	v_lshlrev_b64 v[4:5], 2, v[1:2]
	v_add_co_u32 v1, vcc_lo, v20, v6
	v_add_co_ci_u32_e64 v6, null, 0, v21, vcc_lo
	v_mov_b32_e32 v8, v2
	v_add_co_u32 v4, vcc_lo, v18, v4
	v_add_co_ci_u32_e64 v5, null, v19, v5, vcc_lo
	v_cmp_gt_i32_e32 vcc_lo, s25, v0
	v_mov_b32_e32 v9, v2
	v_mov_b32_e32 v10, v2
	;; [unrolled: 1-line block ×4, first 2 shown]
	v_cndmask_b32_e32 v5, v5, v6, vcc_lo
	v_cndmask_b32_e32 v4, v4, v1, vcc_lo
	v_mov_b32_e32 v6, v2
	v_mov_b32_e32 v14, v2
	;; [unrolled: 1-line block ×4, first 2 shown]
	global_load_dword v1, v[4:5], off
	v_mov_b32_e32 v4, v2
	v_mov_b32_e32 v5, v2
	;; [unrolled: 1-line block ×4, first 2 shown]
.LBB23_7:
	s_or_b32 exec_lo, exec_lo, s0
	v_or_b32_e32 v22, 0x100, v0
	s_mov_b32 s0, exec_lo
	v_cmpx_lt_i32_e64 v22, v3
	s_cbranch_execz .LBB23_9
; %bb.8:
	v_lshlrev_b32_e32 v2, 2, v0
	v_mov_b32_e32 v25, 0
	v_subrev_nc_u32_e32 v24, s25, v22
	v_add_co_u32 v2, vcc_lo, v20, v2
	v_lshlrev_b64 v[24:25], 2, v[24:25]
	v_add_co_ci_u32_e64 v26, null, 0, v21, vcc_lo
	v_add_co_u32 v2, vcc_lo, 0x400, v2
	v_add_co_ci_u32_e64 v26, null, 0, v26, vcc_lo
	v_add_co_u32 v24, vcc_lo, v18, v24
	v_add_co_ci_u32_e64 v25, null, v19, v25, vcc_lo
	v_cmp_gt_i32_e32 vcc_lo, s25, v22
	v_cndmask_b32_e32 v25, v25, v26, vcc_lo
	v_cndmask_b32_e32 v24, v24, v2, vcc_lo
	global_load_dword v2, v[24:25], off
.LBB23_9:
	s_or_b32 exec_lo, exec_lo, s0
	v_or_b32_e32 v22, 0x200, v0
	s_mov_b32 s0, exec_lo
	v_cmpx_lt_i32_e64 v22, v3
	s_cbranch_execz .LBB23_11
; %bb.10:
	v_mov_b32_e32 v25, 0
	v_subrev_nc_u32_e32 v24, s25, v22
	v_lshlrev_b32_e32 v4, 2, v22
	v_lshlrev_b64 v[24:25], 2, v[24:25]
	v_add_co_u32 v4, vcc_lo, v20, v4
	v_add_co_ci_u32_e64 v26, null, 0, v21, vcc_lo
	v_add_co_u32 v24, vcc_lo, v18, v24
	v_add_co_ci_u32_e64 v25, null, v19, v25, vcc_lo
	v_cmp_gt_i32_e32 vcc_lo, s25, v22
	v_cndmask_b32_e32 v25, v25, v26, vcc_lo
	v_cndmask_b32_e32 v24, v24, v4, vcc_lo
	global_load_dword v4, v[24:25], off
.LBB23_11:
	s_or_b32 exec_lo, exec_lo, s0
	v_or_b32_e32 v22, 0x300, v0
	s_mov_b32 s0, exec_lo
	v_cmpx_lt_i32_e64 v22, v3
	s_cbranch_execz .LBB23_13
; %bb.12:
	v_mov_b32_e32 v25, 0
	v_subrev_nc_u32_e32 v24, s25, v22
	v_lshlrev_b32_e32 v6, 2, v22
	v_lshlrev_b64 v[24:25], 2, v[24:25]
	v_add_co_u32 v6, vcc_lo, v20, v6
	v_add_co_ci_u32_e64 v26, null, 0, v21, vcc_lo
	v_add_co_u32 v24, vcc_lo, v18, v24
	v_add_co_ci_u32_e64 v25, null, v19, v25, vcc_lo
	v_cmp_gt_i32_e32 vcc_lo, s25, v22
	v_cndmask_b32_e32 v25, v25, v26, vcc_lo
	v_cndmask_b32_e32 v24, v24, v6, vcc_lo
	global_load_dword v6, v[24:25], off
.LBB23_13:
	;; [unrolled: 19-line block ×14, first 2 shown]
	s_or_b32 exec_lo, exec_lo, s0
	v_lshlrev_b32_e32 v24, 4, v0
	v_lshlrev_b32_e32 v22, 2, v0
	s_lshl_b32 s0, s25, 2
	s_mov_b32 s2, 0
	s_addk_i32 s0, 0x4800
	v_min_i32_e32 v3, v3, v24
	s_waitcnt vmcnt(0)
	ds_write2st64_b32 v22, v1, v2 offset0:76 offset1:80
	ds_write2st64_b32 v22, v4, v6 offset0:84 offset1:88
	s_mov_b32 s1, exec_lo
	ds_write2st64_b32 v22, v5, v7 offset0:92 offset1:96
	ds_write2st64_b32 v22, v8, v9 offset0:100 offset1:104
	ds_write2st64_b32 v22, v10, v11 offset0:108 offset1:112
	ds_write2st64_b32 v22, v12, v14 offset0:116 offset1:120
	ds_write2st64_b32 v22, v13, v15 offset0:124 offset1:128
	ds_write2st64_b32 v22, v16, v23 offset0:132 offset1:136
	v_sub_nc_u32_e32 v1, v3, v17
	v_min_i32_e32 v2, s25, v3
	s_waitcnt lgkmcnt(0)
	s_barrier
	buffer_gl0_inv
	v_max_i32_e32 v1, 0, v1
	v_cmpx_lt_i32_e64 v1, v2
	s_cbranch_execz .LBB23_41
; %bb.38:
	v_lshlrev_b32_e32 v4, 2, v3
	v_add3_u32 v4, s0, v4, 0x400
	.p2align	6
.LBB23_39:                              ; =>This Inner Loop Header: Depth=1
	v_add_nc_u32_e32 v5, v2, v1
	v_lshrrev_b32_e32 v5, 1, v5
	v_not_b32_e32 v6, v5
	v_lshlrev_b32_e32 v7, 2, v5
	v_add_nc_u32_e32 v8, 1, v5
	v_lshl_add_u32 v6, v6, 2, v4
	ds_read_b32 v7, v7 offset:19456
	ds_read_b32 v6, v6
	s_waitcnt lgkmcnt(0)
	v_cmp_lt_i32_e32 vcc_lo, v6, v7
	v_cndmask_b32_e32 v2, v2, v5, vcc_lo
	v_cndmask_b32_e32 v1, v8, v1, vcc_lo
	v_cmp_ge_i32_e32 vcc_lo, v1, v2
	s_or_b32 s2, vcc_lo, s2
	s_andn2_b32 exec_lo, exec_lo, s2
	s_cbranch_execnz .LBB23_39
; %bb.40:
	s_or_b32 exec_lo, exec_lo, s2
.LBB23_41:
	s_or_b32 exec_lo, exec_lo, s1
	v_or_b32_e32 v23, 0x4800, v22
	v_sub_nc_u32_e32 v6, v3, v1
	v_mov_b32_e32 v4, 0
	s_mov_b32 s1, exec_lo
	v_cmpx_lt_i32_e64 v6, v17
	s_cbranch_execz .LBB23_71
; %bb.42:
	v_lshl_add_u32 v4, v6, 2, s0
	v_mov_b32_e32 v2, 0
	v_mov_b32_e32 v7, 0
	s_mov_b32 s2, exec_lo
	ds_read_b32 v5, v4 offset:1024
	v_cmpx_lt_i32_e32 0, v1
	s_cbranch_execnz .LBB23_47
; %bb.43:
	s_or_b32 exec_lo, exec_lo, s2
	s_mov_b32 s2, exec_lo
	v_cmpx_lt_i32_e64 v2, v7
	s_cbranch_execnz .LBB23_48
.LBB23_44:
	s_or_b32 exec_lo, exec_lo, s2
	s_mov_b32 s2, exec_lo
	v_cmpx_lt_i32_e64 v2, v7
	s_cbranch_execnz .LBB23_49
.LBB23_45:
	s_or_b32 exec_lo, exec_lo, s2
	s_mov_b32 s2, exec_lo
	v_cmpx_lt_i32_e64 v2, v7
	s_cbranch_execnz .LBB23_50
.LBB23_46:
	s_or_b32 exec_lo, exec_lo, s2
	s_mov_b32 s2, exec_lo
	v_cmpx_lt_i32_e64 v2, v7
	s_cbranch_execnz .LBB23_51
	s_branch .LBB23_54
.LBB23_47:
	v_mul_lo_u32 v2, 0x1ff, v1
	v_ashrrev_i32_e32 v7, 9, v2
	v_lshlrev_b32_e32 v2, 2, v7
	v_add_nc_u32_e32 v8, 1, v7
	ds_read_b32 v2, v2 offset:19456
	s_waitcnt lgkmcnt(0)
	v_cmp_lt_i32_e32 vcc_lo, v2, v5
	v_cndmask_b32_e32 v2, 0, v8, vcc_lo
	v_cndmask_b32_e32 v7, v7, v1, vcc_lo
	s_or_b32 exec_lo, exec_lo, s2
	s_mov_b32 s2, exec_lo
	v_cmpx_lt_i32_e64 v2, v7
	s_cbranch_execz .LBB23_44
.LBB23_48:
	v_sub_nc_u32_e32 v8, v2, v7
	v_lshl_add_u32 v8, v7, 7, v8
	v_ashrrev_i32_e32 v8, 7, v8
	v_lshlrev_b32_e32 v9, 2, v8
	v_add_nc_u32_e32 v10, 1, v8
	ds_read_b32 v9, v9 offset:19456
	s_waitcnt lgkmcnt(0)
	v_cmp_lt_i32_e32 vcc_lo, v9, v5
	v_cndmask_b32_e32 v2, v2, v10, vcc_lo
	v_cndmask_b32_e32 v7, v8, v7, vcc_lo
	s_or_b32 exec_lo, exec_lo, s2
	s_mov_b32 s2, exec_lo
	v_cmpx_lt_i32_e64 v2, v7
	s_cbranch_execz .LBB23_45
.LBB23_49:
	v_sub_nc_u32_e32 v8, v2, v7
	v_lshl_add_u32 v8, v7, 5, v8
	v_ashrrev_i32_e32 v8, 5, v8
	v_lshlrev_b32_e32 v9, 2, v8
	v_add_nc_u32_e32 v10, 1, v8
	ds_read_b32 v9, v9 offset:19456
	s_waitcnt lgkmcnt(0)
	v_cmp_lt_i32_e32 vcc_lo, v9, v5
	v_cndmask_b32_e32 v2, v2, v10, vcc_lo
	v_cndmask_b32_e32 v7, v8, v7, vcc_lo
	s_or_b32 exec_lo, exec_lo, s2
	s_mov_b32 s2, exec_lo
	v_cmpx_lt_i32_e64 v2, v7
	s_cbranch_execz .LBB23_46
.LBB23_50:
	v_sub_nc_u32_e32 v8, v2, v7
	v_lshl_add_u32 v8, v7, 4, v8
	v_ashrrev_i32_e32 v8, 4, v8
	v_lshlrev_b32_e32 v9, 2, v8
	v_add_nc_u32_e32 v10, 1, v8
	ds_read_b32 v9, v9 offset:19456
	s_waitcnt lgkmcnt(0)
	v_cmp_lt_i32_e32 vcc_lo, v9, v5
	v_cndmask_b32_e32 v2, v2, v10, vcc_lo
	v_cndmask_b32_e32 v7, v8, v7, vcc_lo
	s_or_b32 exec_lo, exec_lo, s2
	s_mov_b32 s2, exec_lo
	v_cmpx_lt_i32_e64 v2, v7
	s_cbranch_execz .LBB23_54
.LBB23_51:
	s_mov_b32 s3, 0
.LBB23_52:                              ; =>This Inner Loop Header: Depth=1
	v_sub_nc_u32_e32 v8, v2, v7
	v_lshl_add_u32 v8, v7, 1, v8
	v_ashrrev_i32_e32 v8, 1, v8
	v_lshlrev_b32_e32 v9, 2, v8
	v_add_nc_u32_e32 v10, 1, v8
	ds_read_b32 v9, v9 offset:19456
	s_waitcnt lgkmcnt(0)
	v_cmp_lt_i32_e32 vcc_lo, v9, v5
	v_cndmask_b32_e32 v2, v2, v10, vcc_lo
	v_cndmask_b32_e32 v7, v8, v7, vcc_lo
	v_cmp_ge_i32_e32 vcc_lo, v2, v7
	s_or_b32 s3, vcc_lo, s3
	s_andn2_b32 exec_lo, exec_lo, s3
	s_cbranch_execnz .LBB23_52
; %bb.53:
	s_or_b32 exec_lo, exec_lo, s3
.LBB23_54:
	s_or_b32 exec_lo, exec_lo, s2
	v_mov_b32_e32 v7, 0
	v_mov_b32_e32 v8, v6
	s_mov_b32 s2, exec_lo
	v_cmpx_lt_i32_e32 0, v6
	s_cbranch_execnz .LBB23_59
; %bb.55:
	s_or_b32 exec_lo, exec_lo, s2
	s_mov_b32 s2, exec_lo
	v_cmpx_lt_i32_e64 v7, v8
	s_cbranch_execnz .LBB23_60
.LBB23_56:
	s_or_b32 exec_lo, exec_lo, s2
	s_mov_b32 s2, exec_lo
	v_cmpx_lt_i32_e64 v7, v8
	s_cbranch_execnz .LBB23_61
.LBB23_57:
	s_or_b32 exec_lo, exec_lo, s2
	s_mov_b32 s2, exec_lo
	v_cmpx_lt_i32_e64 v7, v8
	s_cbranch_execnz .LBB23_62
.LBB23_58:
	s_or_b32 exec_lo, exec_lo, s2
	s_mov_b32 s2, exec_lo
	v_cmpx_lt_i32_e64 v7, v8
	s_cbranch_execnz .LBB23_63
	s_branch .LBB23_66
.LBB23_59:
	v_mul_lo_u32 v7, 0x1ff, v6
	v_lshrrev_b32_e32 v8, 9, v7
	v_lshl_add_u32 v7, v8, 2, s0
	v_add_nc_u32_e32 v9, 1, v8
	ds_read_b32 v7, v7 offset:1024
	s_waitcnt lgkmcnt(0)
	v_cmp_lt_i32_e32 vcc_lo, v7, v5
	v_cndmask_b32_e32 v7, 0, v9, vcc_lo
	v_cndmask_b32_e32 v8, v8, v6, vcc_lo
	s_or_b32 exec_lo, exec_lo, s2
	s_mov_b32 s2, exec_lo
	v_cmpx_lt_i32_e64 v7, v8
	s_cbranch_execz .LBB23_56
.LBB23_60:
	v_sub_nc_u32_e32 v9, v7, v8
	v_lshl_add_u32 v9, v8, 7, v9
	v_ashrrev_i32_e32 v9, 7, v9
	v_lshl_add_u32 v10, v9, 2, s0
	v_add_nc_u32_e32 v11, 1, v9
	ds_read_b32 v10, v10 offset:1024
	s_waitcnt lgkmcnt(0)
	v_cmp_lt_i32_e32 vcc_lo, v10, v5
	v_cndmask_b32_e32 v7, v7, v11, vcc_lo
	v_cndmask_b32_e32 v8, v9, v8, vcc_lo
	s_or_b32 exec_lo, exec_lo, s2
	s_mov_b32 s2, exec_lo
	v_cmpx_lt_i32_e64 v7, v8
	s_cbranch_execz .LBB23_57
.LBB23_61:
	v_sub_nc_u32_e32 v9, v7, v8
	v_lshl_add_u32 v9, v8, 5, v9
	v_ashrrev_i32_e32 v9, 5, v9
	v_lshl_add_u32 v10, v9, 2, s0
	v_add_nc_u32_e32 v11, 1, v9
	ds_read_b32 v10, v10 offset:1024
	s_waitcnt lgkmcnt(0)
	v_cmp_lt_i32_e32 vcc_lo, v10, v5
	v_cndmask_b32_e32 v7, v7, v11, vcc_lo
	v_cndmask_b32_e32 v8, v9, v8, vcc_lo
	s_or_b32 exec_lo, exec_lo, s2
	s_mov_b32 s2, exec_lo
	v_cmpx_lt_i32_e64 v7, v8
	s_cbranch_execz .LBB23_58
.LBB23_62:
	v_sub_nc_u32_e32 v9, v7, v8
	v_lshl_add_u32 v9, v8, 4, v9
	v_ashrrev_i32_e32 v9, 4, v9
	v_lshl_add_u32 v10, v9, 2, s0
	v_add_nc_u32_e32 v11, 1, v9
	ds_read_b32 v10, v10 offset:1024
	s_waitcnt lgkmcnt(0)
	v_cmp_lt_i32_e32 vcc_lo, v10, v5
	v_cndmask_b32_e32 v7, v7, v11, vcc_lo
	v_cndmask_b32_e32 v8, v9, v8, vcc_lo
	s_or_b32 exec_lo, exec_lo, s2
	s_mov_b32 s2, exec_lo
	v_cmpx_lt_i32_e64 v7, v8
	s_cbranch_execz .LBB23_66
.LBB23_63:
	s_mov_b32 s3, 0
.LBB23_64:                              ; =>This Inner Loop Header: Depth=1
	v_sub_nc_u32_e32 v9, v7, v8
	v_lshl_add_u32 v9, v8, 1, v9
	v_ashrrev_i32_e32 v9, 1, v9
	v_lshl_add_u32 v10, v9, 2, s0
	v_add_nc_u32_e32 v11, 1, v9
	ds_read_b32 v10, v10 offset:1024
	s_waitcnt lgkmcnt(0)
	v_cmp_lt_i32_e32 vcc_lo, v10, v5
	v_cndmask_b32_e32 v7, v7, v11, vcc_lo
	v_cndmask_b32_e32 v8, v9, v8, vcc_lo
	v_cmp_ge_i32_e32 vcc_lo, v7, v8
	s_or_b32 s3, vcc_lo, s3
	s_andn2_b32 exec_lo, exec_lo, s3
	s_cbranch_execnz .LBB23_64
; %bb.65:
	s_or_b32 exec_lo, exec_lo, s3
.LBB23_66:
	s_or_b32 exec_lo, exec_lo, s2
	v_sub_nc_u32_e32 v1, v1, v2
	v_sub_nc_u32_e32 v9, v6, v7
	s_mov_b32 s0, exec_lo
	v_add_nc_u32_e32 v8, v9, v1
	v_ashrrev_i32_e32 v1, 1, v8
	v_max_i32_e32 v1, v1, v9
	v_add3_u32 v7, v7, v1, 1
	v_min_i32_e32 v7, v7, v17
	v_sub_nc_u32_e32 v7, v7, v6
	v_mov_b32_e32 v6, 0
	v_cmpx_lt_i32_e32 0, v7
	s_cbranch_execz .LBB23_70
; %bb.67:
	v_mov_b32_e32 v6, 0
	s_mov_b32 s2, 0
.LBB23_68:                              ; =>This Inner Loop Header: Depth=1
	v_add_nc_u32_e32 v10, v6, v7
	v_lshrrev_b32_e32 v10, 1, v10
	v_lshl_add_u32 v11, v10, 2, v4
	v_add_nc_u32_e32 v12, 1, v10
	ds_read_b32 v11, v11 offset:1024
	s_waitcnt lgkmcnt(0)
	v_cmp_lt_i32_e32 vcc_lo, v5, v11
	v_cndmask_b32_e32 v6, v12, v6, vcc_lo
	v_cndmask_b32_e32 v7, v7, v10, vcc_lo
	v_cmp_ge_i32_e32 vcc_lo, v6, v7
	s_or_b32 s2, vcc_lo, s2
	s_andn2_b32 exec_lo, exec_lo, s2
	s_cbranch_execnz .LBB23_68
; %bb.69:
	s_or_b32 exec_lo, exec_lo, s2
.LBB23_70:
	s_or_b32 exec_lo, exec_lo, s0
	v_add_nc_u32_e32 v4, v6, v9
	s_waitcnt lgkmcnt(0)
	v_min_i32_e32 v5, v4, v1
	v_cmp_lt_i32_e32 vcc_lo, v1, v4
	v_sub_nc_u32_e32 v6, v8, v5
	v_add_nc_u32_e32 v5, 1, v5
	v_add_nc_u32_e32 v1, v6, v2
	v_cmp_eq_u32_e64 s0, v6, v5
	s_and_b32 s0, vcc_lo, s0
	v_cndmask_b32_e64 v4, 0, 1, s0
.LBB23_71:
	s_or_b32 exec_lo, exec_lo, s1
	v_add_nc_u32_e32 v2, v4, v3
	s_lshl_b32 s0, s25, 16
	v_lshlrev_b32_e32 v7, 2, v1
	v_or_b32_e32 v3, s0, v17
	v_sub_co_u32 v5, s0, v0, 1
	v_sub_nc_u32_e32 v2, v2, v1
	v_mov_b32_e32 v6, v1
	s_mov_b32 s1, exec_lo
	v_cndmask_b32_e64 v5, v5, 0xff, s0
	v_lshl_or_b32 v4, v1, 16, v2
	v_lshlrev_b32_e32 v5, 2, v5
	v_cndmask_b32_e64 v4, v4, v3, s0
	v_add_nc_u32_e32 v3, s25, v2
	ds_write_b32 v5, v4 offset:18432
	v_lshlrev_b32_e32 v8, 2, v3
	s_waitcnt lgkmcnt(0)
	s_barrier
	buffer_gl0_inv
	ds_read_b32 v25, v7 offset:19456
	ds_read_b32 v4, v8 offset:19456
	ds_read_b32 v5, v23
	s_waitcnt lgkmcnt(2)
	v_mov_b32_e32 v24, v25
	s_waitcnt lgkmcnt(1)
	v_cmpx_ge_i32_e64 v4, v25
; %bb.72:
	v_add_nc_u32_e32 v6, 0x4800, v7
	ds_read_b32 v24, v6 offset:1028
	v_add_nc_u32_e32 v6, 1, v1
; %bb.73:
	s_or_b32 exec_lo, exec_lo, s1
	v_mov_b32_e32 v7, v4
	s_mov_b32 s1, exec_lo
	v_cmpx_ge_i32_e64 v25, v4
; %bb.74:
	v_add_nc_u32_e32 v7, 0x4800, v8
	v_add_nc_u32_e32 v3, 1, v3
	ds_read_b32 v7, v7 offset:1028
; %bb.75:
	s_or_b32 exec_lo, exec_lo, s1
	s_waitcnt lgkmcnt(0)
	v_mov_b32_e32 v26, v24
	v_mov_b32_e32 v8, v6
	s_mov_b32 s1, exec_lo
	v_cmpx_ge_i32_e64 v7, v24
; %bb.76:
	v_lshlrev_b32_e32 v8, 2, v6
	ds_read_b32 v26, v8 offset:19460
	v_add_nc_u32_e32 v8, 1, v6
; %bb.77:
	s_or_b32 exec_lo, exec_lo, s1
	v_mov_b32_e32 v9, v7
	v_mov_b32_e32 v10, v3
	s_mov_b32 s1, exec_lo
	v_cmpx_ge_i32_e64 v24, v7
; %bb.78:
	v_lshlrev_b32_e32 v9, 2, v3
	v_add_nc_u32_e32 v10, 1, v3
	ds_read_b32 v9, v9 offset:19460
; %bb.79:
	s_or_b32 exec_lo, exec_lo, s1
	s_waitcnt lgkmcnt(0)
	v_mov_b32_e32 v27, v26
	v_mov_b32_e32 v11, v8
	s_mov_b32 s1, exec_lo
	v_cmpx_ge_i32_e64 v9, v26
; %bb.80:
	v_lshlrev_b32_e32 v11, 2, v8
	ds_read_b32 v27, v11 offset:19460
	v_add_nc_u32_e32 v11, 1, v8
; %bb.81:
	s_or_b32 exec_lo, exec_lo, s1
	v_mov_b32_e32 v12, v9
	v_mov_b32_e32 v13, v10
	s_mov_b32 s1, exec_lo
	v_cmpx_ge_i32_e64 v26, v9
; %bb.82:
	v_lshlrev_b32_e32 v12, 2, v10
	;; [unrolled: 21-line block ×3, first 2 shown]
	v_add_nc_u32_e32 v16, 1, v13
	ds_read_b32 v15, v15 offset:19460
; %bb.87:
	s_or_b32 exec_lo, exec_lo, s1
	s_waitcnt lgkmcnt(0)
	v_mov_b32_e32 v29, v28
	v_mov_b32_e32 v40, v14
	s_mov_b32 s1, exec_lo
	v_cmpx_ge_i32_e64 v15, v28
; %bb.88:
	v_lshlrev_b32_e32 v29, 2, v14
	v_add_nc_u32_e32 v40, 1, v14
	ds_read_b32 v29, v29 offset:19460
; %bb.89:
	s_or_b32 exec_lo, exec_lo, s1
	v_mov_b32_e32 v41, v15
	v_mov_b32_e32 v42, v16
	s_mov_b32 s1, exec_lo
	v_cmpx_ge_i32_e64 v28, v15
; %bb.90:
	v_lshlrev_b32_e32 v30, 2, v16
	v_add_nc_u32_e32 v42, 1, v16
	ds_read_b32 v41, v30 offset:19460
; %bb.91:
	s_or_b32 exec_lo, exec_lo, s1
	s_waitcnt lgkmcnt(0)
	v_mov_b32_e32 v30, v29
	v_mov_b32_e32 v43, v40
	s_mov_b32 s1, exec_lo
	v_cmpx_ge_i32_e64 v41, v29
; %bb.92:
	v_lshlrev_b32_e32 v30, 2, v40
	v_add_nc_u32_e32 v43, 1, v40
	ds_read_b32 v30, v30 offset:19460
; %bb.93:
	s_or_b32 exec_lo, exec_lo, s1
	v_mov_b32_e32 v44, v41
	v_mov_b32_e32 v45, v42
	s_mov_b32 s1, exec_lo
	v_cmpx_ge_i32_e64 v29, v41
; %bb.94:
	v_lshlrev_b32_e32 v31, 2, v42
	;; [unrolled: 21-line block ×11, first 2 shown]
	ds_read_b32 v72, v71 offset:19460
	v_add_nc_u32_e32 v71, 1, v68
; %bb.131:
	s_or_b32 exec_lo, exec_lo, s1
	v_add_nc_u32_sdwa v73, v5, s25 dst_sel:DWORD dst_unused:UNUSED_PAD src0_sel:WORD_0 src1_sel:DWORD
	v_cmp_ge_i32_sdwa s7, v64, sext(v5) src0_sel:DWORD src1_sel:WORD_1
	v_cmp_ge_i32_sdwa s10, v52, sext(v5) src0_sel:DWORD src1_sel:WORD_1
	;; [unrolled: 1-line block ×4, first 2 shown]
	v_cmp_ge_i32_e64 s4, v66, v73
	v_cmp_ge_i32_e64 s11, v42, v73
	v_cmp_ge_i32_sdwa s26, v11, sext(v5) src0_sel:DWORD src1_sel:WORD_1
	v_cmp_ge_i32_sdwa s17, v14, sext(v5) src0_sel:DWORD src1_sel:WORD_1
	;; [unrolled: 1-line block ×3, first 2 shown]
	s_or_b32 s29, s7, s4
	v_cmp_ge_i32_e64 s7, v54, v73
	s_or_b32 s38, s15, s11
	v_cmp_ge_i32_e64 s15, v13, v73
	v_cmp_ge_i32_e64 s16, v10, v73
	v_cmp_gt_i32_sdwa s42, sext(v5), v1 src0_sel:WORD_1 src1_sel:DWORD
	s_or_b32 s34, s10, s7
	v_cmp_ge_i32_e64 s10, v45, v73
	s_or_b32 s41, s26, s15
	v_cmp_ne_u32_e64 s15, v9, v26
	s_or_b32 s26, s39, s16
	v_cmp_ge_i32_sdwa s39, v6, sext(v5) src0_sel:DWORD src1_sel:WORD_1
	s_or_b32 s37, s14, s10
	v_cmp_ge_i32_e64 s14, v16, v73
	v_cmp_gt_i32_sdwa s43, v5, v2 src0_sel:WORD_0 src1_sel:DWORD
	v_cmp_ne_u32_e64 s16, v7, v24
	s_or_b32 s26, s15, s26
	v_cmp_eq_u32_e64 s15, v4, v25
	s_or_b32 s40, s17, s14
	v_cmp_ge_i32_e64 s17, v3, v73
	v_cmp_ge_i32_sdwa s5, v70, sext(v5) src0_sel:DWORD src1_sel:WORD_1
	v_cmp_ge_i32_e64 s2, v71, v73
	v_cmp_ge_i32_sdwa s6, v67, sext(v5) src0_sel:DWORD src1_sel:WORD_1
	v_cmp_ge_i32_e64 s3, v68, v73
	s_or_b32 s17, s39, s17
	s_and_b32 s39, s42, s43
	v_cmp_ne_u32_e64 s11, v15, v28
	v_cmp_ne_u32_e64 s14, v12, v27
	s_or_b32 s16, s16, s17
	s_and_b32 s15, s39, s15
	v_cmp_ge_i32_sdwa s8, v61, sext(v5) src0_sel:DWORD src1_sel:WORD_1
	s_or_b32 s27, s5, s2
	v_cmp_ge_i32_e64 s2, v63, v73
	v_cndmask_b32_e64 v1, 4, 0, s26
	v_cndmask_b32_e64 v2, 2, 0, s16
	;; [unrolled: 1-line block ×3, first 2 shown]
	s_or_b32 s28, s6, s3
	v_cmp_ge_i32_sdwa s9, v55, sext(v5) src0_sel:DWORD src1_sel:WORD_1
	v_cmp_ge_i32_e64 s6, v57, v73
	v_cmp_ne_u32_e64 s13, v44, v30
	v_cmp_ne_u32_e64 s10, v41, v29
	s_or_b32 s11, s11, s40
	s_or_b32 s14, s14, s41
	;; [unrolled: 1-line block ×3, first 2 shown]
	v_cmp_ge_i32_sdwa s8, v58, sext(v5) src0_sel:DWORD src1_sel:WORD_1
	v_cmp_ge_i32_sdwa s35, v49, sext(v5) src0_sel:DWORD src1_sel:WORD_1
	;; [unrolled: 1-line block ×3, first 2 shown]
	v_cndmask_b32_e64 v4, 16, 0, s11
	v_cndmask_b32_e64 v5, 8, 0, s14
	v_or3_b32 v1, v2, v3, v1
	v_cmp_ge_i32_e64 s5, v60, v73
	v_cmp_ge_i32_e64 s12, v47, v73
	s_or_b32 s33, s9, s6
	v_cmp_ne_u32_e64 s9, v48, v31
	s_or_b32 s13, s13, s37
	s_or_b32 s10, s10, s38
	v_cndmask_b32_e64 v2, 64, 0, s13
	v_cndmask_b32_e64 v3, 32, 0, s10
	v_or3_b32 v1, v1, v5, v4
	s_or_b32 s31, s8, s5
	v_cmp_ne_u32_e64 s6, v53, v33
	v_cmp_ge_i32_e64 s8, v51, v73
	s_or_b32 s12, s36, s12
	v_cmp_ne_u32_e64 s7, v50, v32
	s_or_b32 s9, s9, s12
	v_or3_b32 v45, v1, v3, v2
	v_cndmask_b32_e64 v4, 0x80, 0, s9
	v_cmp_ne_u32_e64 s2, v59, v35
	s_or_b32 s8, s35, s8
	s_or_b32 s6, s6, s34
	v_cmp_ne_u32_e64 s5, v56, v34
	v_cndmask_b32_e64 v1, 0x200, 0, s6
	s_or_b32 s6, s7, s8
	v_or_b32_e32 v44, v4, v45
	v_cndmask_b32_e64 v2, 0x100, 0, s6
	v_cmp_ne_u32_e64 s3, v65, v37
	s_or_b32 s2, s2, s31
	v_cmp_ne_u32_e64 s4, v62, v36
	v_cndmask_b32_e64 v3, 0x800, 0, s2
	s_or_b32 s2, s5, s33
	v_or3_b32 v43, v2, v1, v44
	v_cndmask_b32_e64 v4, 0x400, 0, s2
	s_or_b32 s2, s3, s29
	s_waitcnt lgkmcnt(0)
	v_cmp_ne_u32_e32 vcc_lo, v72, v39
	v_cmp_ne_u32_e64 s1, v69, v38
	v_cndmask_b32_e64 v1, 0x2000, 0, s2
	s_or_b32 s2, s4, s30
	v_or3_b32 v42, v4, v3, v43
	v_cndmask_b32_e64 v2, 0x1000, 0, s2
	s_or_b32 s2, vcc_lo, s27
	s_or_b32 s1, s1, s28
	v_cndmask_b32_e64 v3, 0x8000, 0, s2
	v_cndmask_b32_e64 v4, 0x4000, 0, s1
	v_or3_b32 v41, v2, v1, v42
	v_mov_b32_e32 v10, 0
	s_mov_b32 s1, -1
	s_cmp_lg_u32 s24, 0
	v_or3_b32 v40, v4, v3, v41
	s_barrier
	buffer_gl0_inv
	v_bcnt_u32_b32 v9, v40, 0
	s_cbranch_scc0 .LBB23_189
; %bb.132:
	v_mbcnt_lo_u32_b32 v46, -1, 0
	v_mov_b32_e32 v1, v9
	v_mov_b32_dpp v7, v9 row_shr:1 row_mask:0xf bank_mask:0xf
	v_mov_b32_dpp v6, v10 row_shr:1 row_mask:0xf bank_mask:0xf
	v_mov_b32_e32 v4, v9
	v_and_b32_e32 v5, 15, v46
	v_mov_b32_e32 v3, v10
	v_mov_b32_e32 v2, v10
	s_mov_b32 s1, exec_lo
	v_cmpx_ne_u32_e32 0, v5
; %bb.133:
	v_add_co_u32 v4, s2, v7, v9
	v_add_co_ci_u32_e64 v1, null, 0, 0, s2
	v_add_co_u32 v2, vcc_lo, 0, v4
	v_add_co_ci_u32_e64 v3, null, v6, v1, vcc_lo
	v_mov_b32_e32 v1, v2
	v_mov_b32_e32 v2, v3
; %bb.134:
	s_or_b32 exec_lo, exec_lo, s1
	v_mov_b32_dpp v7, v4 row_shr:2 row_mask:0xf bank_mask:0xf
	v_mov_b32_dpp v6, v3 row_shr:2 row_mask:0xf bank_mask:0xf
	s_mov_b32 s1, exec_lo
	v_cmpx_lt_u32_e32 1, v5
; %bb.135:
	v_add_co_u32 v4, vcc_lo, v1, v7
	v_add_co_ci_u32_e64 v1, null, 0, v2, vcc_lo
	v_add_co_u32 v2, vcc_lo, 0, v4
	v_add_co_ci_u32_e64 v3, null, v6, v1, vcc_lo
	v_mov_b32_e32 v1, v2
	v_mov_b32_e32 v2, v3
; %bb.136:
	s_or_b32 exec_lo, exec_lo, s1
	v_mov_b32_dpp v7, v4 row_shr:4 row_mask:0xf bank_mask:0xf
	v_mov_b32_dpp v6, v3 row_shr:4 row_mask:0xf bank_mask:0xf
	s_mov_b32 s1, exec_lo
	v_cmpx_lt_u32_e32 3, v5
; %bb.137:
	v_add_co_u32 v4, vcc_lo, v1, v7
	v_add_co_ci_u32_e64 v1, null, 0, v2, vcc_lo
	;; [unrolled: 13-line block ×3, first 2 shown]
	v_add_co_u32 v1, vcc_lo, 0, v4
	v_add_co_ci_u32_e64 v2, null, v6, v2, vcc_lo
	v_mov_b32_e32 v3, v2
; %bb.140:
	s_or_b32 exec_lo, exec_lo, s1
	ds_swizzle_b32 v5, v4 offset:swizzle(BROADCAST,32,15)
	ds_swizzle_b32 v3, v3 offset:swizzle(BROADCAST,32,15)
	v_and_b32_e32 v6, 16, v46
	s_mov_b32 s1, exec_lo
	v_cmpx_ne_u32_e32 0, v6
	s_cbranch_execz .LBB23_142
; %bb.141:
	s_waitcnt lgkmcnt(1)
	v_add_co_u32 v4, vcc_lo, v1, v5
	v_add_co_ci_u32_e64 v2, null, 0, v2, vcc_lo
	v_add_co_u32 v1, vcc_lo, 0, v4
	s_waitcnt lgkmcnt(0)
	v_add_co_ci_u32_e64 v2, null, v3, v2, vcc_lo
.LBB23_142:
	s_or_b32 exec_lo, exec_lo, s1
	s_waitcnt lgkmcnt(0)
	v_or_b32_e32 v3, 31, v0
	v_lshrrev_b32_e32 v5, 5, v0
	v_cmp_eq_u32_e32 vcc_lo, v0, v3
	v_lshlrev_b32_e32 v3, 3, v5
	s_and_saveexec_b32 s1, vcc_lo
; %bb.143:
	ds_write_b64 v3, v[1:2] offset:18432
; %bb.144:
	s_or_b32 exec_lo, exec_lo, s1
	s_mov_b32 s1, exec_lo
	s_waitcnt lgkmcnt(0)
	s_barrier
	buffer_gl0_inv
	v_cmpx_gt_u32_e32 8, v0
	s_cbranch_execz .LBB23_152
; %bb.145:
	v_lshlrev_b32_e32 v6, 3, v0
	v_and_b32_e32 v5, 7, v46
	s_mov_b32 s2, exec_lo
	ds_read_b64 v[1:2], v6 offset:18432
	s_waitcnt lgkmcnt(0)
	v_mov_b32_dpp v11, v1 row_shr:1 row_mask:0xf bank_mask:0xf
	v_mov_b32_dpp v8, v2 row_shr:1 row_mask:0xf bank_mask:0xf
	v_mov_b32_e32 v7, v1
	v_cmpx_ne_u32_e32 0, v5
; %bb.146:
	v_add_co_u32 v7, vcc_lo, v1, v11
	v_add_co_ci_u32_e64 v2, null, 0, v2, vcc_lo
	v_add_co_u32 v1, vcc_lo, 0, v7
	v_add_co_ci_u32_e64 v2, null, v8, v2, vcc_lo
; %bb.147:
	s_or_b32 exec_lo, exec_lo, s2
	v_mov_b32_dpp v11, v7 row_shr:2 row_mask:0xf bank_mask:0xf
	v_mov_b32_dpp v8, v2 row_shr:2 row_mask:0xf bank_mask:0xf
	s_mov_b32 s2, exec_lo
	v_cmpx_lt_u32_e32 1, v5
; %bb.148:
	v_add_co_u32 v7, vcc_lo, v1, v11
	v_add_co_ci_u32_e64 v2, null, 0, v2, vcc_lo
	v_add_co_u32 v1, vcc_lo, 0, v7
	v_add_co_ci_u32_e64 v2, null, v8, v2, vcc_lo
; %bb.149:
	s_or_b32 exec_lo, exec_lo, s2
	v_or_b32_e32 v6, 0x4800, v6
	v_mov_b32_dpp v8, v7 row_shr:4 row_mask:0xf bank_mask:0xf
	v_mov_b32_dpp v7, v2 row_shr:4 row_mask:0xf bank_mask:0xf
	s_mov_b32 s2, exec_lo
	v_cmpx_lt_u32_e32 3, v5
; %bb.150:
	v_add_co_u32 v1, vcc_lo, v1, v8
	v_add_co_ci_u32_e64 v2, null, 0, v2, vcc_lo
	v_add_co_u32 v1, vcc_lo, v1, 0
	v_add_co_ci_u32_e64 v2, null, v2, v7, vcc_lo
; %bb.151:
	s_or_b32 exec_lo, exec_lo, s2
	ds_write_b64 v6, v[1:2]
.LBB23_152:
	s_or_b32 exec_lo, exec_lo, s1
	s_mov_b32 s2, exec_lo
	v_cmp_gt_u32_e32 vcc_lo, 32, v0
	s_waitcnt lgkmcnt(0)
	s_barrier
	buffer_gl0_inv
                                        ; implicit-def: $vgpr11_vgpr12
	v_cmpx_lt_u32_e32 31, v0
	s_cbranch_execz .LBB23_154
; %bb.153:
	ds_read_b64 v[11:12], v3 offset:18424
	s_waitcnt lgkmcnt(0)
	v_add_nc_u32_e32 v4, v4, v11
.LBB23_154:
	s_or_b32 exec_lo, exec_lo, s2
	v_sub_co_u32 v1, s1, v46, 1
	v_cmp_gt_i32_e64 s2, 0, v1
	v_cndmask_b32_e64 v1, v1, v46, s2
	v_lshlrev_b32_e32 v1, 2, v1
	ds_bpermute_b32 v47, v1, v4
	s_and_saveexec_b32 s2, vcc_lo
	s_cbranch_execz .LBB23_194
; %bb.155:
	v_mov_b32_e32 v4, 0
	ds_read_b64 v[1:2], v4 offset:18488
	s_and_saveexec_b32 s3, s1
	s_cbranch_execz .LBB23_157
; %bb.156:
	s_add_i32 s4, s24, 32
	s_mov_b32 s5, 0
	v_mov_b32_e32 v3, 1
	s_lshl_b64 s[4:5], s[4:5], 4
	s_add_u32 s4, s20, s4
	s_addc_u32 s5, s21, s5
	v_mov_b32_e32 v6, s5
	v_mov_b32_e32 v5, s4
	s_waitcnt lgkmcnt(0)
	;;#ASMSTART
	global_store_dwordx4 v[5:6], v[1:4] off	
s_waitcnt vmcnt(0)
	;;#ASMEND
.LBB23_157:
	s_or_b32 exec_lo, exec_lo, s3
	v_xad_u32 v13, v46, -1, s24
	s_mov_b32 s4, 0
	v_add_nc_u32_e32 v3, 32, v13
	v_lshlrev_b64 v[5:6], 4, v[3:4]
	v_add_co_u32 v14, vcc_lo, s20, v5
	v_add_co_ci_u32_e64 v15, null, s21, v6, vcc_lo
	;;#ASMSTART
	global_load_dwordx4 v[5:8], v[14:15] off glc dlc	
s_waitcnt vmcnt(0)
	;;#ASMEND
	v_cmp_eq_u16_sdwa s5, v7, v4 src0_sel:BYTE_0 src1_sel:DWORD
	s_and_saveexec_b32 s3, s5
	s_cbranch_execz .LBB23_161
; %bb.158:
	v_mov_b32_e32 v3, 0
.LBB23_159:                             ; =>This Inner Loop Header: Depth=1
	;;#ASMSTART
	global_load_dwordx4 v[5:8], v[14:15] off glc dlc	
s_waitcnt vmcnt(0)
	;;#ASMEND
	v_cmp_ne_u16_sdwa s5, v7, v3 src0_sel:BYTE_0 src1_sel:DWORD
	s_or_b32 s4, s5, s4
	s_andn2_b32 exec_lo, exec_lo, s4
	s_cbranch_execnz .LBB23_159
; %bb.160:
	s_or_b32 exec_lo, exec_lo, s4
.LBB23_161:
	s_or_b32 exec_lo, exec_lo, s3
	v_cmp_ne_u32_e32 vcc_lo, 31, v46
	v_mov_b32_e32 v4, 2
	v_lshlrev_b32_e64 v49, v46, -1
	v_add_co_ci_u32_e64 v3, null, 0, v46, vcc_lo
	v_cmp_eq_u16_sdwa s3, v7, v4 src0_sel:BYTE_0 src1_sel:DWORD
	v_mov_b32_e32 v4, v5
	v_lshlrev_b32_e32 v48, 2, v3
	v_and_or_b32 v3, s3, v49, 0x80000000
	s_mov_b32 s3, exec_lo
	ds_bpermute_b32 v14, v48, v5
	ds_bpermute_b32 v8, v48, v6
	v_ffbl_b32_e32 v3, v3
	v_cmpx_lt_u32_e64 v46, v3
	s_cbranch_execz .LBB23_163
; %bb.162:
	s_waitcnt lgkmcnt(1)
	v_add_co_u32 v4, vcc_lo, v5, v14
	v_add_co_ci_u32_e64 v6, null, 0, v6, vcc_lo
	v_add_co_u32 v5, vcc_lo, 0, v4
	s_waitcnt lgkmcnt(0)
	v_add_co_ci_u32_e64 v6, null, v8, v6, vcc_lo
.LBB23_163:
	s_or_b32 exec_lo, exec_lo, s3
	v_cmp_gt_u32_e32 vcc_lo, 30, v46
	v_add_nc_u32_e32 v51, 2, v46
	s_mov_b32 s3, exec_lo
	s_waitcnt lgkmcnt(0)
	v_cndmask_b32_e64 v8, 0, 2, vcc_lo
	v_add_lshl_u32 v50, v8, v46, 2
	ds_bpermute_b32 v14, v50, v4
	ds_bpermute_b32 v8, v50, v6
	v_cmpx_le_u32_e64 v51, v3
	s_cbranch_execz .LBB23_165
; %bb.164:
	s_waitcnt lgkmcnt(1)
	v_add_co_u32 v4, vcc_lo, v5, v14
	v_add_co_ci_u32_e64 v6, null, 0, v6, vcc_lo
	v_add_co_u32 v5, vcc_lo, 0, v4
	s_waitcnt lgkmcnt(0)
	v_add_co_ci_u32_e64 v6, null, v8, v6, vcc_lo
.LBB23_165:
	s_or_b32 exec_lo, exec_lo, s3
	v_cmp_gt_u32_e32 vcc_lo, 28, v46
	v_add_nc_u32_e32 v53, 4, v46
	s_mov_b32 s3, exec_lo
	s_waitcnt lgkmcnt(0)
	v_cndmask_b32_e64 v8, 0, 4, vcc_lo
	v_add_lshl_u32 v52, v8, v46, 2
	ds_bpermute_b32 v14, v52, v4
	ds_bpermute_b32 v8, v52, v6
	v_cmpx_le_u32_e64 v53, v3
	;; [unrolled: 19-line block ×3, first 2 shown]
	s_cbranch_execz .LBB23_169
; %bb.168:
	s_waitcnt lgkmcnt(1)
	v_add_co_u32 v4, vcc_lo, v5, v14
	v_add_co_ci_u32_e64 v6, null, 0, v6, vcc_lo
	v_add_co_u32 v5, vcc_lo, 0, v4
	s_waitcnt lgkmcnt(0)
	v_add_co_ci_u32_e64 v6, null, v8, v6, vcc_lo
.LBB23_169:
	s_or_b32 exec_lo, exec_lo, s3
	v_lshl_or_b32 v56, v46, 2, 64
	v_add_nc_u32_e32 v57, 16, v46
	s_mov_b32 s3, exec_lo
	s_waitcnt lgkmcnt(0)
	ds_bpermute_b32 v8, v56, v4
	ds_bpermute_b32 v4, v56, v6
	v_cmpx_le_u32_e64 v57, v3
	s_cbranch_execz .LBB23_171
; %bb.170:
	s_waitcnt lgkmcnt(1)
	v_add_co_u32 v3, vcc_lo, v5, v8
	v_add_co_ci_u32_e64 v6, null, 0, v6, vcc_lo
	v_add_co_u32 v5, vcc_lo, v3, 0
	s_waitcnt lgkmcnt(0)
	v_add_co_ci_u32_e64 v6, null, v6, v4, vcc_lo
.LBB23_171:
	s_or_b32 exec_lo, exec_lo, s3
	v_mov_b32_e32 v14, 0
	v_mov_b32_e32 v58, 2
	s_branch .LBB23_174
.LBB23_172:                             ;   in Loop: Header=BB23_174 Depth=1
	s_or_b32 exec_lo, exec_lo, s3
	v_add_co_u32 v5, vcc_lo, v5, v3
	v_subrev_nc_u32_e32 v13, 32, v13
	v_add_co_ci_u32_e64 v6, null, v6, v4, vcc_lo
	s_mov_b32 s3, 0
.LBB23_173:                             ;   in Loop: Header=BB23_174 Depth=1
	s_and_b32 vcc_lo, exec_lo, s3
	s_cbranch_vccnz .LBB23_190
.LBB23_174:                             ; =>This Loop Header: Depth=1
                                        ;     Child Loop BB23_177 Depth 2
	v_cmp_ne_u16_sdwa s3, v7, v58 src0_sel:BYTE_0 src1_sel:DWORD
	s_waitcnt lgkmcnt(0)
	v_mov_b32_e32 v3, v5
	v_mov_b32_e32 v4, v6
                                        ; implicit-def: $vgpr5_vgpr6
	s_cmp_lg_u32 s3, exec_lo
	s_mov_b32 s3, -1
	s_cbranch_scc1 .LBB23_173
; %bb.175:                              ;   in Loop: Header=BB23_174 Depth=1
	v_lshlrev_b64 v[5:6], 4, v[13:14]
	v_add_co_u32 v15, vcc_lo, s20, v5
	v_add_co_ci_u32_e64 v16, null, s21, v6, vcc_lo
	;;#ASMSTART
	global_load_dwordx4 v[5:8], v[15:16] off glc dlc	
s_waitcnt vmcnt(0)
	;;#ASMEND
	v_cmp_eq_u16_sdwa s4, v7, v14 src0_sel:BYTE_0 src1_sel:DWORD
	s_and_saveexec_b32 s3, s4
	s_cbranch_execz .LBB23_179
; %bb.176:                              ;   in Loop: Header=BB23_174 Depth=1
	s_mov_b32 s4, 0
.LBB23_177:                             ;   Parent Loop BB23_174 Depth=1
                                        ; =>  This Inner Loop Header: Depth=2
	;;#ASMSTART
	global_load_dwordx4 v[5:8], v[15:16] off glc dlc	
s_waitcnt vmcnt(0)
	;;#ASMEND
	v_cmp_ne_u16_sdwa s5, v7, v14 src0_sel:BYTE_0 src1_sel:DWORD
	s_or_b32 s4, s5, s4
	s_andn2_b32 exec_lo, exec_lo, s4
	s_cbranch_execnz .LBB23_177
; %bb.178:                              ;   in Loop: Header=BB23_174 Depth=1
	s_or_b32 exec_lo, exec_lo, s4
.LBB23_179:                             ;   in Loop: Header=BB23_174 Depth=1
	s_or_b32 exec_lo, exec_lo, s3
	ds_bpermute_b32 v59, v48, v5
	ds_bpermute_b32 v16, v48, v6
	v_cmp_eq_u16_sdwa s3, v7, v58 src0_sel:BYTE_0 src1_sel:DWORD
	v_mov_b32_e32 v15, v5
	v_and_or_b32 v8, s3, v49, 0x80000000
	s_mov_b32 s3, exec_lo
	v_ffbl_b32_e32 v8, v8
	v_cmpx_lt_u32_e64 v46, v8
	s_cbranch_execz .LBB23_181
; %bb.180:                              ;   in Loop: Header=BB23_174 Depth=1
	s_waitcnt lgkmcnt(1)
	v_add_co_u32 v15, vcc_lo, v5, v59
	v_add_co_ci_u32_e64 v6, null, 0, v6, vcc_lo
	v_add_co_u32 v5, vcc_lo, 0, v15
	s_waitcnt lgkmcnt(0)
	v_add_co_ci_u32_e64 v6, null, v16, v6, vcc_lo
.LBB23_181:                             ;   in Loop: Header=BB23_174 Depth=1
	s_or_b32 exec_lo, exec_lo, s3
	s_waitcnt lgkmcnt(1)
	ds_bpermute_b32 v59, v50, v15
	s_waitcnt lgkmcnt(1)
	ds_bpermute_b32 v16, v50, v6
	s_mov_b32 s3, exec_lo
	v_cmpx_le_u32_e64 v51, v8
	s_cbranch_execz .LBB23_183
; %bb.182:                              ;   in Loop: Header=BB23_174 Depth=1
	s_waitcnt lgkmcnt(1)
	v_add_co_u32 v15, vcc_lo, v5, v59
	v_add_co_ci_u32_e64 v6, null, 0, v6, vcc_lo
	v_add_co_u32 v5, vcc_lo, 0, v15
	s_waitcnt lgkmcnt(0)
	v_add_co_ci_u32_e64 v6, null, v16, v6, vcc_lo
.LBB23_183:                             ;   in Loop: Header=BB23_174 Depth=1
	s_or_b32 exec_lo, exec_lo, s3
	s_waitcnt lgkmcnt(1)
	ds_bpermute_b32 v59, v52, v15
	s_waitcnt lgkmcnt(1)
	ds_bpermute_b32 v16, v52, v6
	s_mov_b32 s3, exec_lo
	v_cmpx_le_u32_e64 v53, v8
	;; [unrolled: 16-line block ×3, first 2 shown]
	s_cbranch_execz .LBB23_187
; %bb.186:                              ;   in Loop: Header=BB23_174 Depth=1
	s_waitcnt lgkmcnt(1)
	v_add_co_u32 v15, vcc_lo, v5, v59
	v_add_co_ci_u32_e64 v6, null, 0, v6, vcc_lo
	v_add_co_u32 v5, vcc_lo, 0, v15
	s_waitcnt lgkmcnt(0)
	v_add_co_ci_u32_e64 v6, null, v16, v6, vcc_lo
.LBB23_187:                             ;   in Loop: Header=BB23_174 Depth=1
	s_or_b32 exec_lo, exec_lo, s3
	s_waitcnt lgkmcnt(0)
	ds_bpermute_b32 v16, v56, v15
	ds_bpermute_b32 v15, v56, v6
	s_mov_b32 s3, exec_lo
	v_cmpx_le_u32_e64 v57, v8
	s_cbranch_execz .LBB23_172
; %bb.188:                              ;   in Loop: Header=BB23_174 Depth=1
	s_waitcnt lgkmcnt(1)
	v_add_co_u32 v5, vcc_lo, v5, v16
	v_add_co_ci_u32_e64 v6, null, 0, v6, vcc_lo
	v_add_co_u32 v5, vcc_lo, v5, 0
	s_waitcnt lgkmcnt(0)
	v_add_co_ci_u32_e64 v6, null, v6, v15, vcc_lo
	s_branch .LBB23_172
.LBB23_189:
                                        ; implicit-def: $vgpr1_vgpr2
                                        ; implicit-def: $vgpr5_vgpr6
	s_and_b32 vcc_lo, exec_lo, s1
	s_movk_i32 s6, 0x4840
	s_cbranch_vccnz .LBB23_195
	s_branch .LBB23_218
.LBB23_190:
	s_and_saveexec_b32 s3, s1
	s_cbranch_execz .LBB23_192
; %bb.191:
	s_add_i32 s4, s24, 32
	s_mov_b32 s5, 0
	v_add_co_u32 v5, vcc_lo, v3, v1
	s_lshl_b64 s[4:5], s[4:5], 4
	v_mov_b32_e32 v8, 0
	s_add_u32 s4, s20, s4
	s_addc_u32 s5, s21, s5
	v_add_co_ci_u32_e64 v6, null, v4, v2, vcc_lo
	v_mov_b32_e32 v14, s5
	v_mov_b32_e32 v7, 2
	;; [unrolled: 1-line block ×3, first 2 shown]
	;;#ASMSTART
	global_store_dwordx4 v[13:14], v[5:8] off	
s_waitcnt vmcnt(0)
	;;#ASMEND
	ds_write_b128 v8, v[1:4] offset:18496
.LBB23_192:
	s_or_b32 exec_lo, exec_lo, s3
	s_and_b32 exec_lo, exec_lo, s0
; %bb.193:
	v_mov_b32_e32 v1, 0
	ds_write_b64 v1, v[3:4] offset:18488
.LBB23_194:
	s_or_b32 exec_lo, exec_lo, s2
	v_mov_b32_e32 v1, 0
	s_waitcnt lgkmcnt(0)
	s_barrier
	buffer_gl0_inv
	v_cndmask_b32_e64 v5, v47, v11, s1
	ds_read_b64 v[3:4], v1 offset:18488
	s_waitcnt lgkmcnt(0)
	s_barrier
	buffer_gl0_inv
	ds_read_b64 v[1:2], v1 offset:18504
	v_cndmask_b32_e64 v6, 0, v12, s1
	v_cndmask_b32_e64 v5, v5, 0, s0
	;; [unrolled: 1-line block ×3, first 2 shown]
	v_add_co_u32 v5, vcc_lo, v3, v5
	v_add_co_ci_u32_e64 v3, null, v4, v6, vcc_lo
	s_movk_i32 s6, 0x4840
	s_branch .LBB23_218
.LBB23_195:
	v_mbcnt_lo_u32_b32 v5, -1, 0
	v_mov_b32_e32 v3, 0
	s_waitcnt lgkmcnt(0)
	v_mov_b32_e32 v1, v9
	v_mov_b32_dpp v7, v9 row_shr:1 row_mask:0xf bank_mask:0xf
	v_mov_b32_e32 v2, v10
	v_and_b32_e32 v4, 15, v5
	v_mov_b32_dpp v6, v3 row_shr:1 row_mask:0xf bank_mask:0xf
	s_mov_b32 s1, exec_lo
	v_cmpx_ne_u32_e32 0, v4
; %bb.196:
	v_add_co_u32 v9, s2, v7, v9
	v_add_co_ci_u32_e64 v1, null, 0, 0, s2
	v_add_co_u32 v2, vcc_lo, 0, v9
	v_add_co_ci_u32_e64 v3, null, v6, v1, vcc_lo
	v_mov_b32_e32 v1, v2
	v_mov_b32_e32 v2, v3
; %bb.197:
	s_or_b32 exec_lo, exec_lo, s1
	v_mov_b32_dpp v7, v9 row_shr:2 row_mask:0xf bank_mask:0xf
	v_mov_b32_dpp v6, v3 row_shr:2 row_mask:0xf bank_mask:0xf
	s_mov_b32 s1, exec_lo
	v_cmpx_lt_u32_e32 1, v4
; %bb.198:
	v_add_co_u32 v9, vcc_lo, v1, v7
	v_add_co_ci_u32_e64 v1, null, 0, v2, vcc_lo
	v_add_co_u32 v2, vcc_lo, 0, v9
	v_add_co_ci_u32_e64 v3, null, v6, v1, vcc_lo
	v_mov_b32_e32 v1, v2
	v_mov_b32_e32 v2, v3
; %bb.199:
	s_or_b32 exec_lo, exec_lo, s1
	v_mov_b32_dpp v7, v9 row_shr:4 row_mask:0xf bank_mask:0xf
	v_mov_b32_dpp v6, v3 row_shr:4 row_mask:0xf bank_mask:0xf
	s_mov_b32 s1, exec_lo
	v_cmpx_lt_u32_e32 3, v4
; %bb.200:
	v_add_co_u32 v9, vcc_lo, v1, v7
	v_add_co_ci_u32_e64 v1, null, 0, v2, vcc_lo
	;; [unrolled: 13-line block ×3, first 2 shown]
	v_add_co_u32 v1, vcc_lo, 0, v9
	v_add_co_ci_u32_e64 v2, null, v6, v2, vcc_lo
	v_mov_b32_e32 v3, v2
; %bb.203:
	s_or_b32 exec_lo, exec_lo, s1
	ds_swizzle_b32 v4, v9 offset:swizzle(BROADCAST,32,15)
	ds_swizzle_b32 v3, v3 offset:swizzle(BROADCAST,32,15)
	v_and_b32_e32 v6, 16, v5
	s_mov_b32 s1, exec_lo
	v_cmpx_ne_u32_e32 0, v6
	s_cbranch_execz .LBB23_205
; %bb.204:
	s_waitcnt lgkmcnt(1)
	v_add_co_u32 v9, vcc_lo, v1, v4
	v_add_co_ci_u32_e64 v2, null, 0, v2, vcc_lo
	v_add_co_u32 v1, vcc_lo, 0, v9
	s_waitcnt lgkmcnt(0)
	v_add_co_ci_u32_e64 v2, null, v3, v2, vcc_lo
.LBB23_205:
	s_or_b32 exec_lo, exec_lo, s1
	s_waitcnt lgkmcnt(1)
	v_lshrrev_b32_e32 v4, 5, v0
	s_waitcnt lgkmcnt(0)
	v_or_b32_e32 v3, 31, v0
	s_mov_b32 s1, exec_lo
	v_lshlrev_b32_e32 v6, 3, v4
	v_cmpx_eq_u32_e64 v0, v3
; %bb.206:
	ds_write_b64 v6, v[1:2] offset:18432
; %bb.207:
	s_or_b32 exec_lo, exec_lo, s1
	s_mov_b32 s1, exec_lo
	s_waitcnt lgkmcnt(0)
	s_barrier
	buffer_gl0_inv
	v_cmpx_gt_u32_e32 8, v0
	s_cbranch_execz .LBB23_215
; %bb.208:
	v_add_nc_u32_e32 v3, v23, v22
	v_and_b32_e32 v4, 7, v5
	s_mov_b32 s2, exec_lo
	ds_read_b64 v[1:2], v3
	s_waitcnt lgkmcnt(0)
	v_mov_b32_dpp v10, v1 row_shr:1 row_mask:0xf bank_mask:0xf
	v_mov_b32_dpp v8, v2 row_shr:1 row_mask:0xf bank_mask:0xf
	v_mov_b32_e32 v7, v1
	v_cmpx_ne_u32_e32 0, v4
; %bb.209:
	v_add_co_u32 v7, vcc_lo, v1, v10
	v_add_co_ci_u32_e64 v2, null, 0, v2, vcc_lo
	v_add_co_u32 v1, vcc_lo, 0, v7
	v_add_co_ci_u32_e64 v2, null, v8, v2, vcc_lo
; %bb.210:
	s_or_b32 exec_lo, exec_lo, s2
	v_mov_b32_dpp v10, v7 row_shr:2 row_mask:0xf bank_mask:0xf
	v_mov_b32_dpp v8, v2 row_shr:2 row_mask:0xf bank_mask:0xf
	s_mov_b32 s2, exec_lo
	v_cmpx_lt_u32_e32 1, v4
; %bb.211:
	v_add_co_u32 v7, vcc_lo, v1, v10
	v_add_co_ci_u32_e64 v2, null, 0, v2, vcc_lo
	v_add_co_u32 v1, vcc_lo, 0, v7
	v_add_co_ci_u32_e64 v2, null, v8, v2, vcc_lo
; %bb.212:
	s_or_b32 exec_lo, exec_lo, s2
	v_mov_b32_dpp v8, v7 row_shr:4 row_mask:0xf bank_mask:0xf
	v_mov_b32_dpp v7, v2 row_shr:4 row_mask:0xf bank_mask:0xf
	s_mov_b32 s2, exec_lo
	v_cmpx_lt_u32_e32 3, v4
; %bb.213:
	v_add_co_u32 v1, vcc_lo, v1, v8
	v_add_co_ci_u32_e64 v2, null, 0, v2, vcc_lo
	v_add_co_u32 v1, vcc_lo, v1, 0
	v_add_co_ci_u32_e64 v2, null, v2, v7, vcc_lo
; %bb.214:
	s_or_b32 exec_lo, exec_lo, s2
	ds_write_b64 v3, v[1:2]
.LBB23_215:
	s_or_b32 exec_lo, exec_lo, s1
	v_mov_b32_e32 v1, 0
	v_mov_b32_e32 v2, 0
	s_mov_b32 s1, exec_lo
	v_mov_b32_e32 v3, 0
	v_mov_b32_e32 v4, 0
	s_waitcnt lgkmcnt(0)
	s_barrier
	buffer_gl0_inv
	v_cmpx_lt_u32_e32 31, v0
; %bb.216:
	ds_read_b64 v[3:4], v6 offset:18424
; %bb.217:
	s_or_b32 exec_lo, exec_lo, s1
	s_waitcnt lgkmcnt(0)
	v_sub_co_u32 v4, vcc_lo, v5, 1
	s_movk_i32 s6, 0x4838
	v_cmp_gt_i32_e64 s1, 0, v4
	v_cndmask_b32_e64 v4, v4, v5, s1
	v_add_nc_u32_e32 v5, v9, v3
	v_lshlrev_b32_e32 v4, 2, v4
	ds_bpermute_b32 v4, v4, v5
	s_waitcnt lgkmcnt(0)
	v_cndmask_b32_e32 v5, v4, v3, vcc_lo
.LBB23_218:
	v_mov_b32_e32 v3, s6
	s_waitcnt lgkmcnt(0)
	v_sub_nc_u32_e32 v5, v5, v1
	s_xor_b32 s1, s10, -1
	s_xor_b32 s2, s11, -1
	;; [unrolled: 1-line block ×3, first 2 shown]
	ds_read_b64 v[3:4], v3
	s_xor_b32 s4, s26, -1
	s_xor_b32 s5, s16, -1
	s_waitcnt lgkmcnt(0)
	s_barrier
	buffer_gl0_inv
	s_and_saveexec_b32 s6, s15
	s_cbranch_execnz .LBB23_264
; %bb.219:
	s_or_b32 exec_lo, exec_lo, s6
	s_and_saveexec_b32 s6, s5
	s_cbranch_execnz .LBB23_265
.LBB23_220:
	s_or_b32 exec_lo, exec_lo, s6
	s_and_saveexec_b32 s5, s4
	s_cbranch_execnz .LBB23_266
.LBB23_221:
	s_or_b32 exec_lo, exec_lo, s5
	s_and_saveexec_b32 s4, s3
	s_cbranch_execnz .LBB23_267
.LBB23_222:
	s_or_b32 exec_lo, exec_lo, s4
	s_and_saveexec_b32 s3, s2
	s_cbranch_execnz .LBB23_268
.LBB23_223:
	s_or_b32 exec_lo, exec_lo, s3
	s_and_saveexec_b32 s2, s1
.LBB23_224:
	v_lshlrev_b32_e32 v6, 2, v5
	v_add_nc_u32_e32 v5, 1, v5
	ds_write_b32 v6, v29 offset:19456
.LBB23_225:
	s_or_b32 exec_lo, exec_lo, s2
	v_and_b32_e32 v6, 64, v45
	s_mov_b32 s1, exec_lo
	v_cmpx_ne_u32_e32 0, v6
; %bb.226:
	v_lshlrev_b32_e32 v6, 2, v5
	v_add_nc_u32_e32 v5, 1, v5
	ds_write_b32 v6, v30 offset:19456
; %bb.227:
	s_or_b32 exec_lo, exec_lo, s1
	v_and_b32_e32 v6, 0x80, v44
	s_mov_b32 s1, exec_lo
	v_cmpx_ne_u32_e32 0, v6
; %bb.228:
	v_lshlrev_b32_e32 v6, 2, v5
	v_add_nc_u32_e32 v5, 1, v5
	ds_write_b32 v6, v31 offset:19456
; %bb.229:
	s_or_b32 exec_lo, exec_lo, s1
	v_and_b32_e32 v6, 0x100, v43
	s_mov_b32 s1, exec_lo
	v_cmpx_ne_u32_e32 0, v6
; %bb.230:
	v_lshlrev_b32_e32 v6, 2, v5
	v_add_nc_u32_e32 v5, 1, v5
	ds_write_b32 v6, v32 offset:19456
; %bb.231:
	s_or_b32 exec_lo, exec_lo, s1
	v_and_b32_e32 v6, 0x200, v43
	s_mov_b32 s1, exec_lo
	v_cmpx_ne_u32_e32 0, v6
; %bb.232:
	v_lshlrev_b32_e32 v6, 2, v5
	v_add_nc_u32_e32 v5, 1, v5
	ds_write_b32 v6, v33 offset:19456
; %bb.233:
	s_or_b32 exec_lo, exec_lo, s1
	v_and_b32_e32 v6, 0x400, v42
	s_mov_b32 s1, exec_lo
	v_cmpx_ne_u32_e32 0, v6
; %bb.234:
	v_lshlrev_b32_e32 v6, 2, v5
	v_add_nc_u32_e32 v5, 1, v5
	ds_write_b32 v6, v34 offset:19456
; %bb.235:
	s_or_b32 exec_lo, exec_lo, s1
	v_and_b32_e32 v6, 0x800, v42
	s_mov_b32 s1, exec_lo
	v_cmpx_ne_u32_e32 0, v6
; %bb.236:
	v_lshlrev_b32_e32 v6, 2, v5
	v_add_nc_u32_e32 v5, 1, v5
	ds_write_b32 v6, v35 offset:19456
; %bb.237:
	s_or_b32 exec_lo, exec_lo, s1
	v_and_b32_e32 v6, 0x1000, v41
	s_mov_b32 s1, exec_lo
	v_cmpx_ne_u32_e32 0, v6
; %bb.238:
	v_lshlrev_b32_e32 v6, 2, v5
	v_add_nc_u32_e32 v5, 1, v5
	ds_write_b32 v6, v36 offset:19456
; %bb.239:
	s_or_b32 exec_lo, exec_lo, s1
	v_and_b32_e32 v6, 0x2000, v41
	s_mov_b32 s1, exec_lo
	v_cmpx_ne_u32_e32 0, v6
; %bb.240:
	v_lshlrev_b32_e32 v6, 2, v5
	v_add_nc_u32_e32 v5, 1, v5
	ds_write_b32 v6, v37 offset:19456
; %bb.241:
	s_or_b32 exec_lo, exec_lo, s1
	v_and_b32_e32 v6, 0x4000, v40
	s_mov_b32 s1, exec_lo
	v_cmpx_ne_u32_e32 0, v6
; %bb.242:
	v_lshlrev_b32_e32 v6, 2, v5
	v_add_nc_u32_e32 v5, 1, v5
	ds_write_b32 v6, v38 offset:19456
; %bb.243:
	s_or_b32 exec_lo, exec_lo, s1
	v_and_b32_e32 v6, 0x8000, v40
	s_mov_b32 s1, exec_lo
	v_cmpx_ne_u32_e32 0, v6
; %bb.244:
	v_lshlrev_b32_e32 v5, 2, v5
	ds_write_b32 v5, v39 offset:19456
; %bb.245:
	s_or_b32 exec_lo, exec_lo, s1
	s_mov_b32 s2, exec_lo
	s_waitcnt lgkmcnt(0)
	s_barrier
	buffer_gl0_inv
	v_cmpx_lt_i32_e64 v0, v3
	s_cbranch_execz .LBB23_248
; %bb.246:
	v_lshlrev_b64 v[5:6], 2, v[1:2]
	v_or_b32_e32 v7, 0x4c00, v22
	v_mov_b32_e32 v8, v0
	s_mov_b32 s3, 0
	v_add_co_u32 v5, vcc_lo, s22, v5
	v_add_co_ci_u32_e64 v6, null, s23, v6, vcc_lo
	v_add_co_u32 v5, vcc_lo, v5, v22
	v_add_co_ci_u32_e64 v6, null, 0, v6, vcc_lo
	.p2align	6
.LBB23_247:                             ; =>This Inner Loop Header: Depth=1
	ds_read_b32 v9, v7
	v_add_nc_u32_e32 v8, 0x100, v8
	v_add_nc_u32_e32 v7, 0x400, v7
	v_cmp_ge_i32_e32 vcc_lo, v8, v3
	s_or_b32 s3, vcc_lo, s3
	s_waitcnt lgkmcnt(0)
	global_store_dword v[5:6], v9, off
	v_add_co_u32 v5, s1, 0x400, v5
	v_add_co_ci_u32_e64 v6, null, 0, v6, s1
	s_andn2_b32 exec_lo, exec_lo, s3
	s_cbranch_execnz .LBB23_247
.LBB23_248:
	s_or_b32 exec_lo, exec_lo, s2
	s_and_saveexec_b32 s1, s0
	s_cbranch_execz .LBB23_250
; %bb.249:
	v_add_co_u32 v1, vcc_lo, v3, v1
	v_mov_b32_e32 v5, 0
	v_add_co_ci_u32_e64 v2, null, v4, v2, vcc_lo
	global_store_dwordx2 v5, v[1:2], s[18:19]
.LBB23_250:
	s_or_b32 exec_lo, exec_lo, s1
	s_mov_b32 s0, 0
.LBB23_251:
	s_and_b32 vcc_lo, exec_lo, s0
	s_cbranch_vccz .LBB23_472
; %bb.252:
	v_mov_b32_e32 v1, 0
	v_subrev_nc_u32_e32 v2, s25, v0
	v_lshlrev_b32_e32 v22, 2, v0
	v_or_b32_e32 v10, 0x100, v0
	v_or_b32_e32 v11, 0x200, v0
	v_mov_b32_e32 v3, v1
	v_mov_b32_e32 v7, v1
	v_or_b32_e32 v23, 0x300, v0
	v_subrev_nc_u32_e32 v6, s25, v10
	v_or_b32_e32 v24, 0x500, v0
	v_lshlrev_b64 v[4:5], 2, v[2:3]
	v_add_co_u32 v2, vcc_lo, v20, v22
	v_add_co_ci_u32_e64 v3, null, 0, v21, vcc_lo
	v_or_b32_e32 v28, 0x800, v0
	v_add_co_u32 v8, vcc_lo, v18, v4
	v_add_co_ci_u32_e64 v9, null, v19, v5, vcc_lo
	v_cmp_gt_i32_e32 vcc_lo, s25, v0
	v_lshlrev_b64 v[4:5], 2, v[6:7]
	v_or_b32_e32 v29, 0xa00, v0
	v_cndmask_b32_e32 v7, v9, v3, vcc_lo
	v_cndmask_b32_e32 v6, v8, v2, vcc_lo
	v_subrev_nc_u32_e32 v8, s25, v11
	v_mov_b32_e32 v9, v1
	v_add_co_u32 v12, vcc_lo, 0x400, v2
	v_add_co_ci_u32_e64 v13, null, 0, v3, vcc_lo
	v_add_co_u32 v14, vcc_lo, v18, v4
	v_add_co_ci_u32_e64 v15, null, v19, v5, vcc_lo
	v_lshlrev_b64 v[4:5], 2, v[8:9]
	v_cmp_gt_i32_e32 vcc_lo, s25, v10
	v_add_co_u32 v10, s0, 0x800, v2
	v_add_co_ci_u32_e64 v16, null, 0, v3, s0
	v_add_co_u32 v4, s0, v18, v4
	v_add_co_ci_u32_e64 v5, null, v19, v5, s0
	v_cmp_gt_i32_e64 s0, s25, v11
	v_cndmask_b32_e32 v9, v15, v13, vcc_lo
	v_cndmask_b32_e32 v8, v14, v12, vcc_lo
	v_subrev_nc_u32_e32 v12, s25, v23
	v_mov_b32_e32 v13, v1
	v_cndmask_b32_e64 v11, v5, v16, s0
	v_cndmask_b32_e64 v10, v4, v10, s0
	global_load_dword v5, v[6:7], off
	global_load_dword v6, v[8:9], off
	;; [unrolled: 1-line block ×3, first 2 shown]
	v_or_b32_e32 v11, 0x400, v0
	v_lshlrev_b64 v[7:8], 2, v[12:13]
	v_mov_b32_e32 v10, v1
	v_add_co_u32 v12, vcc_lo, 0xc00, v2
	v_subrev_nc_u32_e32 v9, s25, v11
	v_add_co_ci_u32_e64 v13, null, 0, v3, vcc_lo
	v_add_co_u32 v15, vcc_lo, v18, v7
	v_lshlrev_b32_e32 v14, 2, v11
	v_add_co_ci_u32_e64 v16, null, v19, v8, vcc_lo
	v_lshlrev_b64 v[7:8], 2, v[9:10]
	v_cmp_gt_i32_e32 vcc_lo, s25, v23
	v_add_co_u32 v14, s0, v20, v14
	v_add_co_ci_u32_e64 v23, null, 0, v21, s0
	v_add_co_u32 v25, s0, v18, v7
	v_add_co_ci_u32_e64 v26, null, v19, v8, s0
	v_subrev_nc_u32_e32 v7, s25, v24
	v_mov_b32_e32 v8, v1
	v_cmp_gt_i32_e64 s0, s25, v11
	v_cndmask_b32_e32 v10, v16, v13, vcc_lo
	v_cndmask_b32_e32 v9, v15, v12, vcc_lo
	v_add_co_u32 v15, vcc_lo, 0x1400, v2
	v_lshlrev_b64 v[7:8], 2, v[7:8]
	v_cndmask_b32_e64 v12, v26, v23, s0
	v_or_b32_e32 v23, 0x600, v0
	v_cndmask_b32_e64 v11, v25, v14, s0
	v_add_co_ci_u32_e64 v16, null, 0, v3, vcc_lo
	v_add_co_u32 v25, vcc_lo, v18, v7
	v_add_co_ci_u32_e64 v26, null, v19, v8, vcc_lo
	v_cmp_gt_i32_e32 vcc_lo, s25, v24
	v_subrev_nc_u32_e32 v13, s25, v23
	v_mov_b32_e32 v14, v1
	global_load_dword v7, v[9:10], off
	global_load_dword v8, v[11:12], off
	v_cndmask_b32_e32 v9, v25, v15, vcc_lo
	v_or_b32_e32 v15, 0x700, v0
	v_lshlrev_b64 v[11:12], 2, v[13:14]
	v_cndmask_b32_e32 v10, v26, v16, vcc_lo
	v_add_co_u32 v16, vcc_lo, 0x1800, v2
	v_subrev_nc_u32_e32 v13, s25, v15
	v_add_co_ci_u32_e64 v24, null, 0, v3, vcc_lo
	v_add_co_u32 v25, vcc_lo, v18, v11
	v_add_co_ci_u32_e64 v26, null, v19, v12, vcc_lo
	v_lshlrev_b64 v[11:12], 2, v[13:14]
	v_add_co_u32 v13, s0, 0x1c00, v2
	v_cmp_gt_i32_e32 vcc_lo, s25, v23
	v_add_co_ci_u32_e64 v14, null, 0, v3, s0
	v_add_co_u32 v23, s0, v18, v11
	v_add_co_ci_u32_e64 v27, null, v19, v12, s0
	v_cmp_gt_i32_e64 s0, s25, v15
	v_cndmask_b32_e32 v11, v25, v16, vcc_lo
	v_subrev_nc_u32_e32 v15, s25, v28
	v_mov_b32_e32 v16, v1
	v_cndmask_b32_e32 v12, v26, v24, vcc_lo
	v_cndmask_b32_e64 v14, v27, v14, s0
	v_cndmask_b32_e64 v13, v23, v13, s0
	global_load_dword v9, v[9:10], off
	global_load_dword v10, v[11:12], off
	v_lshlrev_b32_e32 v23, 2, v28
	v_add_co_u32 v27, s0, 0x2400, v2
	global_load_dword v11, v[13:14], off
	v_lshlrev_b64 v[12:13], 2, v[15:16]
	v_or_b32_e32 v16, 0x900, v0
	v_mov_b32_e32 v15, v1
	v_add_co_u32 v23, vcc_lo, v20, v23
	v_add_co_ci_u32_e64 v24, null, 0, v21, vcc_lo
	v_subrev_nc_u32_e32 v14, s25, v16
	v_add_co_u32 v25, vcc_lo, v18, v12
	v_add_co_ci_u32_e64 v26, null, v19, v13, vcc_lo
	v_lshlrev_b64 v[12:13], 2, v[14:15]
	v_cmp_gt_i32_e32 vcc_lo, s25, v28
	v_add_co_ci_u32_e64 v28, null, 0, v3, s0
	v_add_co_u32 v30, s0, v18, v12
	v_add_co_ci_u32_e64 v31, null, v19, v13, s0
	v_subrev_nc_u32_e32 v12, s25, v29
	v_mov_b32_e32 v13, v1
	v_cmp_gt_i32_e64 s0, s25, v16
	v_cndmask_b32_e32 v15, v26, v24, vcc_lo
	v_cndmask_b32_e32 v14, v25, v23, vcc_lo
	v_add_co_u32 v16, vcc_lo, 0x2800, v2
	v_lshlrev_b64 v[12:13], 2, v[12:13]
	v_cndmask_b32_e64 v24, v31, v28, s0
	v_or_b32_e32 v28, 0xb00, v0
	v_cndmask_b32_e64 v23, v30, v27, s0
	v_add_co_ci_u32_e64 v27, null, 0, v3, vcc_lo
	v_add_co_u32 v30, vcc_lo, v18, v12
	v_add_co_ci_u32_e64 v31, null, v19, v13, vcc_lo
	v_cmp_gt_i32_e32 vcc_lo, s25, v29
	v_subrev_nc_u32_e32 v25, s25, v28
	v_mov_b32_e32 v26, v1
	global_load_dword v12, v[14:15], off
	global_load_dword v13, v[23:24], off
	v_cndmask_b32_e32 v14, v30, v16, vcc_lo
	v_or_b32_e32 v16, 0xc00, v0
	v_lshlrev_b64 v[23:24], 2, v[25:26]
	v_cndmask_b32_e32 v15, v31, v27, vcc_lo
	v_add_co_u32 v27, vcc_lo, 0x2c00, v2
	v_lshlrev_b32_e32 v30, 2, v16
	v_subrev_nc_u32_e32 v25, s25, v16
	v_add_co_ci_u32_e64 v29, null, 0, v3, vcc_lo
	v_add_co_u32 v31, vcc_lo, v18, v23
	v_add_co_ci_u32_e64 v32, null, v19, v24, vcc_lo
	v_lshlrev_b64 v[23:24], 2, v[25:26]
	v_add_co_u32 v25, s0, v20, v30
	v_or_b32_e32 v30, 0xd00, v0
	v_cmp_gt_i32_e32 vcc_lo, s25, v28
	v_add_co_ci_u32_e64 v26, null, 0, v21, s0
	v_mov_b32_e32 v21, v1
	v_subrev_nc_u32_e32 v20, s25, v30
	v_add_co_u32 v33, s0, v18, v23
	v_add_co_ci_u32_e64 v28, null, v19, v24, s0
	v_cndmask_b32_e32 v24, v32, v29, vcc_lo
	v_cndmask_b32_e32 v23, v31, v27, vcc_lo
	v_cmp_gt_i32_e32 vcc_lo, s25, v16
	v_or_b32_e32 v16, 0xe00, v0
	v_lshlrev_b64 v[20:21], 2, v[20:21]
	v_add_co_u32 v29, s0, 0x3400, v2
	v_cndmask_b32_e32 v26, v28, v26, vcc_lo
	v_subrev_nc_u32_e32 v27, s25, v16
	v_mov_b32_e32 v28, v1
	v_add_co_ci_u32_e64 v31, null, 0, v3, s0
	v_add_co_u32 v32, s0, v18, v20
	v_add_co_ci_u32_e64 v34, null, v19, v21, s0
	v_lshlrev_b64 v[20:21], 2, v[27:28]
	v_add_co_u32 v27, s1, 0x3800, v2
	v_cmp_gt_i32_e64 s0, s25, v30
	v_add_co_ci_u32_e64 v28, null, 0, v3, s1
	v_add_co_u32 v30, s1, v18, v20
	v_add_co_ci_u32_e64 v35, null, v19, v21, s1
	v_cmp_gt_i32_e64 s1, s25, v16
	v_cndmask_b32_e32 v25, v33, v25, vcc_lo
	v_cndmask_b32_e64 v21, v34, v31, s0
	v_cndmask_b32_e64 v20, v32, v29, s0
	s_mov_b32 s0, exec_lo
	v_cndmask_b32_e64 v28, v35, v28, s1
	v_cndmask_b32_e64 v27, v30, v27, s1
	global_load_dword v14, v[14:15], off
	global_load_dword v15, v[23:24], off
	;; [unrolled: 1-line block ×5, first 2 shown]
	v_or_b32_e32 v25, 0xf00, v0
	v_add_nc_u32_e32 v23, s25, v17
	v_mov_b32_e32 v24, 0
	v_cmpx_lt_i32_e64 v25, v23
	s_cbranch_execz .LBB23_254
; %bb.253:
	v_subrev_nc_u32_e32 v26, s25, v25
	v_mov_b32_e32 v27, 0
	v_add_co_u32 v2, vcc_lo, 0x3c00, v2
	v_add_co_ci_u32_e64 v3, null, 0, v3, vcc_lo
	v_lshlrev_b64 v[26:27], 2, v[26:27]
	v_add_co_u32 v18, vcc_lo, v18, v26
	v_add_co_ci_u32_e64 v19, null, v19, v27, vcc_lo
	v_cmp_gt_i32_e32 vcc_lo, s25, v25
	v_cndmask_b32_e32 v3, v19, v3, vcc_lo
	v_cndmask_b32_e32 v2, v18, v2, vcc_lo
	global_load_dword v24, v[2:3], off
.LBB23_254:
	s_or_b32 exec_lo, exec_lo, s0
	v_lshlrev_b32_e32 v2, 4, v0
	s_waitcnt vmcnt(13)
	ds_write2st64_b32 v22, v5, v6 offset0:4 offset1:8
	s_waitcnt vmcnt(11)
	ds_write2st64_b32 v22, v4, v7 offset0:12 offset1:16
	;; [unrolled: 2-line block ×5, first 2 shown]
	s_lshl_b32 s1, s25, 2
	s_mov_b32 s2, 0
	v_min_i32_e32 v3, v23, v2
	s_mov_b32 s0, exec_lo
	s_waitcnt vmcnt(3)
	ds_write2st64_b32 v22, v14, v15 offset0:44 offset1:48
	s_waitcnt vmcnt(1)
	ds_write2st64_b32 v22, v16, v20 offset0:52 offset1:56
	s_waitcnt vmcnt(0)
	ds_write2st64_b32 v22, v21, v24 offset0:60 offset1:64
	s_waitcnt lgkmcnt(0)
	s_waitcnt_vscnt null, 0x0
	s_barrier
	v_sub_nc_u32_e32 v2, v3, v17
	v_min_i32_e32 v4, s25, v3
	buffer_gl0_inv
	v_max_i32_e32 v2, 0, v2
	v_cmpx_lt_i32_e64 v2, v4
	s_cbranch_execz .LBB23_258
; %bb.255:
	v_lshlrev_b32_e32 v5, 2, v3
	v_add3_u32 v5, s1, v5, 0x400
	.p2align	6
.LBB23_256:                             ; =>This Inner Loop Header: Depth=1
	v_add_nc_u32_e32 v6, v4, v2
	v_lshrrev_b32_e32 v6, 1, v6
	v_not_b32_e32 v7, v6
	v_lshlrev_b32_e32 v8, 2, v6
	v_add_nc_u32_e32 v9, 1, v6
	v_lshl_add_u32 v7, v7, 2, v5
	ds_read_b32 v8, v8 offset:1024
	ds_read_b32 v7, v7
	s_waitcnt lgkmcnt(0)
	v_cmp_lt_i32_e32 vcc_lo, v7, v8
	v_cndmask_b32_e32 v4, v4, v6, vcc_lo
	v_cndmask_b32_e32 v2, v9, v2, vcc_lo
	v_cmp_ge_i32_e32 vcc_lo, v2, v4
	s_or_b32 s2, vcc_lo, s2
	s_andn2_b32 exec_lo, exec_lo, s2
	s_cbranch_execnz .LBB23_256
; %bb.257:
	s_or_b32 exec_lo, exec_lo, s2
.LBB23_258:
	s_or_b32 exec_lo, exec_lo, s0
	v_sub_nc_u32_e32 v7, v3, v2
	v_mov_b32_e32 v5, 0
	s_mov_b32 s2, exec_lo
	v_cmpx_lt_i32_e64 v7, v17
	s_cbranch_execz .LBB23_293
; %bb.259:
	v_lshl_add_u32 v5, v7, 2, s1
	v_mov_b32_e32 v4, 0
	v_mov_b32_e32 v8, 0
	s_mov_b32 s0, exec_lo
	ds_read_b32 v6, v5 offset:1024
	v_cmpx_lt_i32_e32 0, v2
	s_cbranch_execnz .LBB23_269
; %bb.260:
	s_or_b32 exec_lo, exec_lo, s0
	s_mov_b32 s0, exec_lo
	v_cmpx_lt_i32_e64 v4, v8
	s_cbranch_execnz .LBB23_270
.LBB23_261:
	s_or_b32 exec_lo, exec_lo, s0
	s_mov_b32 s0, exec_lo
	v_cmpx_lt_i32_e64 v4, v8
	s_cbranch_execnz .LBB23_271
.LBB23_262:
	s_or_b32 exec_lo, exec_lo, s0
	s_mov_b32 s0, exec_lo
	v_cmpx_lt_i32_e64 v4, v8
	s_cbranch_execnz .LBB23_272
.LBB23_263:
	s_or_b32 exec_lo, exec_lo, s0
	s_mov_b32 s0, exec_lo
	v_cmpx_lt_i32_e64 v4, v8
	s_cbranch_execnz .LBB23_273
	s_branch .LBB23_276
.LBB23_264:
	v_add_nc_u32_e32 v6, 1, v5
	v_lshlrev_b32_e32 v7, 2, v5
	v_mov_b32_e32 v5, v6
	ds_write_b32 v7, v25 offset:19456
	s_or_b32 exec_lo, exec_lo, s6
	s_and_saveexec_b32 s6, s5
	s_cbranch_execz .LBB23_220
.LBB23_265:
	v_lshlrev_b32_e32 v6, 2, v5
	v_add_nc_u32_e32 v5, 1, v5
	ds_write_b32 v6, v24 offset:19456
	s_or_b32 exec_lo, exec_lo, s6
	s_and_saveexec_b32 s5, s4
	s_cbranch_execz .LBB23_221
.LBB23_266:
	v_lshlrev_b32_e32 v6, 2, v5
	v_add_nc_u32_e32 v5, 1, v5
	ds_write_b32 v6, v26 offset:19456
	s_or_b32 exec_lo, exec_lo, s5
	s_and_saveexec_b32 s4, s3
	s_cbranch_execz .LBB23_222
.LBB23_267:
	v_lshlrev_b32_e32 v6, 2, v5
	v_add_nc_u32_e32 v5, 1, v5
	ds_write_b32 v6, v27 offset:19456
	s_or_b32 exec_lo, exec_lo, s4
	s_and_saveexec_b32 s3, s2
	s_cbranch_execz .LBB23_223
.LBB23_268:
	v_lshlrev_b32_e32 v6, 2, v5
	v_add_nc_u32_e32 v5, 1, v5
	ds_write_b32 v6, v28 offset:19456
	s_or_b32 exec_lo, exec_lo, s3
	s_and_saveexec_b32 s2, s1
	s_cbranch_execnz .LBB23_224
	s_branch .LBB23_225
.LBB23_269:
	v_mul_lo_u32 v4, 0x1ff, v2
	v_ashrrev_i32_e32 v8, 9, v4
	v_lshlrev_b32_e32 v4, 2, v8
	v_add_nc_u32_e32 v9, 1, v8
	ds_read_b32 v4, v4 offset:1024
	s_waitcnt lgkmcnt(0)
	v_cmp_lt_i32_e32 vcc_lo, v4, v6
	v_cndmask_b32_e32 v4, 0, v9, vcc_lo
	v_cndmask_b32_e32 v8, v8, v2, vcc_lo
	s_or_b32 exec_lo, exec_lo, s0
	s_mov_b32 s0, exec_lo
	v_cmpx_lt_i32_e64 v4, v8
	s_cbranch_execz .LBB23_261
.LBB23_270:
	v_sub_nc_u32_e32 v9, v4, v8
	v_lshl_add_u32 v9, v8, 7, v9
	v_ashrrev_i32_e32 v9, 7, v9
	v_lshlrev_b32_e32 v10, 2, v9
	v_add_nc_u32_e32 v11, 1, v9
	ds_read_b32 v10, v10 offset:1024
	s_waitcnt lgkmcnt(0)
	v_cmp_lt_i32_e32 vcc_lo, v10, v6
	v_cndmask_b32_e32 v4, v4, v11, vcc_lo
	v_cndmask_b32_e32 v8, v9, v8, vcc_lo
	s_or_b32 exec_lo, exec_lo, s0
	s_mov_b32 s0, exec_lo
	v_cmpx_lt_i32_e64 v4, v8
	s_cbranch_execz .LBB23_262
.LBB23_271:
	v_sub_nc_u32_e32 v9, v4, v8
	v_lshl_add_u32 v9, v8, 5, v9
	v_ashrrev_i32_e32 v9, 5, v9
	v_lshlrev_b32_e32 v10, 2, v9
	v_add_nc_u32_e32 v11, 1, v9
	ds_read_b32 v10, v10 offset:1024
	s_waitcnt lgkmcnt(0)
	v_cmp_lt_i32_e32 vcc_lo, v10, v6
	v_cndmask_b32_e32 v4, v4, v11, vcc_lo
	v_cndmask_b32_e32 v8, v9, v8, vcc_lo
	s_or_b32 exec_lo, exec_lo, s0
	s_mov_b32 s0, exec_lo
	v_cmpx_lt_i32_e64 v4, v8
	s_cbranch_execz .LBB23_263
.LBB23_272:
	v_sub_nc_u32_e32 v9, v4, v8
	v_lshl_add_u32 v9, v8, 4, v9
	v_ashrrev_i32_e32 v9, 4, v9
	v_lshlrev_b32_e32 v10, 2, v9
	v_add_nc_u32_e32 v11, 1, v9
	ds_read_b32 v10, v10 offset:1024
	s_waitcnt lgkmcnt(0)
	v_cmp_lt_i32_e32 vcc_lo, v10, v6
	v_cndmask_b32_e32 v4, v4, v11, vcc_lo
	v_cndmask_b32_e32 v8, v9, v8, vcc_lo
	s_or_b32 exec_lo, exec_lo, s0
	s_mov_b32 s0, exec_lo
	v_cmpx_lt_i32_e64 v4, v8
	s_cbranch_execz .LBB23_276
.LBB23_273:
	s_mov_b32 s3, 0
.LBB23_274:                             ; =>This Inner Loop Header: Depth=1
	v_sub_nc_u32_e32 v9, v4, v8
	v_lshl_add_u32 v9, v8, 1, v9
	v_ashrrev_i32_e32 v9, 1, v9
	v_lshlrev_b32_e32 v10, 2, v9
	v_add_nc_u32_e32 v11, 1, v9
	ds_read_b32 v10, v10 offset:1024
	s_waitcnt lgkmcnt(0)
	v_cmp_lt_i32_e32 vcc_lo, v10, v6
	v_cndmask_b32_e32 v4, v4, v11, vcc_lo
	v_cndmask_b32_e32 v8, v9, v8, vcc_lo
	v_cmp_ge_i32_e32 vcc_lo, v4, v8
	s_or_b32 s3, vcc_lo, s3
	s_andn2_b32 exec_lo, exec_lo, s3
	s_cbranch_execnz .LBB23_274
; %bb.275:
	s_or_b32 exec_lo, exec_lo, s3
.LBB23_276:
	s_or_b32 exec_lo, exec_lo, s0
	v_mov_b32_e32 v8, 0
	v_mov_b32_e32 v9, v7
	s_mov_b32 s0, exec_lo
	v_cmpx_lt_i32_e32 0, v7
	s_cbranch_execnz .LBB23_281
; %bb.277:
	s_or_b32 exec_lo, exec_lo, s0
	s_mov_b32 s0, exec_lo
	v_cmpx_lt_i32_e64 v8, v9
	s_cbranch_execnz .LBB23_282
.LBB23_278:
	s_or_b32 exec_lo, exec_lo, s0
	s_mov_b32 s0, exec_lo
	v_cmpx_lt_i32_e64 v8, v9
	s_cbranch_execnz .LBB23_283
.LBB23_279:
	s_or_b32 exec_lo, exec_lo, s0
	s_mov_b32 s0, exec_lo
	v_cmpx_lt_i32_e64 v8, v9
	s_cbranch_execnz .LBB23_284
.LBB23_280:
	s_or_b32 exec_lo, exec_lo, s0
	s_mov_b32 s0, exec_lo
	v_cmpx_lt_i32_e64 v8, v9
	s_cbranch_execnz .LBB23_285
	s_branch .LBB23_288
.LBB23_281:
	v_mul_lo_u32 v8, 0x1ff, v7
	v_lshrrev_b32_e32 v9, 9, v8
	v_lshl_add_u32 v8, v9, 2, s1
	v_add_nc_u32_e32 v10, 1, v9
	ds_read_b32 v8, v8 offset:1024
	s_waitcnt lgkmcnt(0)
	v_cmp_lt_i32_e32 vcc_lo, v8, v6
	v_cndmask_b32_e32 v8, 0, v10, vcc_lo
	v_cndmask_b32_e32 v9, v9, v7, vcc_lo
	s_or_b32 exec_lo, exec_lo, s0
	s_mov_b32 s0, exec_lo
	v_cmpx_lt_i32_e64 v8, v9
	s_cbranch_execz .LBB23_278
.LBB23_282:
	v_sub_nc_u32_e32 v10, v8, v9
	v_lshl_add_u32 v10, v9, 7, v10
	v_ashrrev_i32_e32 v10, 7, v10
	v_lshl_add_u32 v11, v10, 2, s1
	v_add_nc_u32_e32 v12, 1, v10
	ds_read_b32 v11, v11 offset:1024
	s_waitcnt lgkmcnt(0)
	v_cmp_lt_i32_e32 vcc_lo, v11, v6
	v_cndmask_b32_e32 v8, v8, v12, vcc_lo
	v_cndmask_b32_e32 v9, v10, v9, vcc_lo
	s_or_b32 exec_lo, exec_lo, s0
	s_mov_b32 s0, exec_lo
	v_cmpx_lt_i32_e64 v8, v9
	s_cbranch_execz .LBB23_279
.LBB23_283:
	v_sub_nc_u32_e32 v10, v8, v9
	v_lshl_add_u32 v10, v9, 5, v10
	v_ashrrev_i32_e32 v10, 5, v10
	v_lshl_add_u32 v11, v10, 2, s1
	v_add_nc_u32_e32 v12, 1, v10
	ds_read_b32 v11, v11 offset:1024
	s_waitcnt lgkmcnt(0)
	v_cmp_lt_i32_e32 vcc_lo, v11, v6
	v_cndmask_b32_e32 v8, v8, v12, vcc_lo
	v_cndmask_b32_e32 v9, v10, v9, vcc_lo
	s_or_b32 exec_lo, exec_lo, s0
	s_mov_b32 s0, exec_lo
	v_cmpx_lt_i32_e64 v8, v9
	s_cbranch_execz .LBB23_280
.LBB23_284:
	v_sub_nc_u32_e32 v10, v8, v9
	v_lshl_add_u32 v10, v9, 4, v10
	v_ashrrev_i32_e32 v10, 4, v10
	v_lshl_add_u32 v11, v10, 2, s1
	v_add_nc_u32_e32 v12, 1, v10
	ds_read_b32 v11, v11 offset:1024
	s_waitcnt lgkmcnt(0)
	v_cmp_lt_i32_e32 vcc_lo, v11, v6
	v_cndmask_b32_e32 v8, v8, v12, vcc_lo
	v_cndmask_b32_e32 v9, v10, v9, vcc_lo
	s_or_b32 exec_lo, exec_lo, s0
	s_mov_b32 s0, exec_lo
	v_cmpx_lt_i32_e64 v8, v9
	s_cbranch_execz .LBB23_288
.LBB23_285:
	s_mov_b32 s3, 0
.LBB23_286:                             ; =>This Inner Loop Header: Depth=1
	v_sub_nc_u32_e32 v10, v8, v9
	v_lshl_add_u32 v10, v9, 1, v10
	v_ashrrev_i32_e32 v10, 1, v10
	v_lshl_add_u32 v11, v10, 2, s1
	v_add_nc_u32_e32 v12, 1, v10
	ds_read_b32 v11, v11 offset:1024
	s_waitcnt lgkmcnt(0)
	v_cmp_lt_i32_e32 vcc_lo, v11, v6
	v_cndmask_b32_e32 v8, v8, v12, vcc_lo
	v_cndmask_b32_e32 v9, v10, v9, vcc_lo
	v_cmp_ge_i32_e32 vcc_lo, v8, v9
	s_or_b32 s3, vcc_lo, s3
	s_andn2_b32 exec_lo, exec_lo, s3
	s_cbranch_execnz .LBB23_286
; %bb.287:
	s_or_b32 exec_lo, exec_lo, s3
.LBB23_288:
	s_or_b32 exec_lo, exec_lo, s0
	v_sub_nc_u32_e32 v2, v2, v4
	v_sub_nc_u32_e32 v10, v7, v8
	s_mov_b32 s0, exec_lo
	v_add_nc_u32_e32 v9, v10, v2
	v_ashrrev_i32_e32 v2, 1, v9
	v_max_i32_e32 v2, v2, v10
	v_add3_u32 v8, v8, v2, 1
	v_min_i32_e32 v8, v8, v17
	v_sub_nc_u32_e32 v8, v8, v7
	v_mov_b32_e32 v7, 0
	v_cmpx_lt_i32_e32 0, v8
	s_cbranch_execz .LBB23_292
; %bb.289:
	v_mov_b32_e32 v7, 0
	s_mov_b32 s3, 0
.LBB23_290:                             ; =>This Inner Loop Header: Depth=1
	v_add_nc_u32_e32 v11, v7, v8
	v_lshrrev_b32_e32 v11, 1, v11
	v_lshl_add_u32 v12, v11, 2, v5
	v_add_nc_u32_e32 v13, 1, v11
	ds_read_b32 v12, v12 offset:1024
	s_waitcnt lgkmcnt(0)
	v_cmp_lt_i32_e32 vcc_lo, v6, v12
	v_cndmask_b32_e32 v7, v13, v7, vcc_lo
	v_cndmask_b32_e32 v8, v8, v11, vcc_lo
	v_cmp_ge_i32_e32 vcc_lo, v7, v8
	s_or_b32 s3, vcc_lo, s3
	s_andn2_b32 exec_lo, exec_lo, s3
	s_cbranch_execnz .LBB23_290
; %bb.291:
	s_or_b32 exec_lo, exec_lo, s3
.LBB23_292:
	s_or_b32 exec_lo, exec_lo, s0
	v_add_nc_u32_e32 v5, v7, v10
	s_waitcnt lgkmcnt(0)
	v_min_i32_e32 v6, v5, v2
	v_cmp_lt_i32_e32 vcc_lo, v2, v5
	v_sub_nc_u32_e32 v7, v9, v6
	v_add_nc_u32_e32 v6, 1, v6
	v_add_nc_u32_e32 v2, v7, v4
	v_cmp_eq_u32_e64 s0, v7, v6
	s_and_b32 s0, vcc_lo, s0
	v_cndmask_b32_e64 v5, 0, 1, s0
.LBB23_293:
	s_or_b32 exec_lo, exec_lo, s2
	v_add_nc_u32_e32 v3, v5, v3
	s_lshl_b32 s0, s25, 16
	v_lshlrev_b32_e32 v7, 2, v2
	v_or_b32_e32 v4, s0, v17
	v_sub_co_u32 v6, s0, v0, 1
	v_sub_nc_u32_e32 v3, v3, v2
	v_lshl_or_b32 v5, v2, 16, v3
	v_lshl_add_u32 v9, v3, 2, s1
	s_mov_b32 s1, exec_lo
	v_cndmask_b32_e64 v4, v5, v4, s0
	v_cndmask_b32_e64 v5, v6, 0xff, s0
	v_mov_b32_e32 v6, v2
	v_lshlrev_b32_e32 v5, 2, v5
	ds_write_b32 v5, v4
	s_waitcnt lgkmcnt(0)
	s_barrier
	buffer_gl0_inv
	ds_read_b32 v19, v7 offset:1024
	ds_read_b32 v4, v9 offset:1024
	ds_read_b32 v5, v22
	s_waitcnt lgkmcnt(2)
	v_mov_b32_e32 v18, v19
	s_waitcnt lgkmcnt(1)
	v_cmpx_ge_i32_e64 v4, v19
; %bb.294:
	ds_read_b32 v18, v7 offset:1028
	v_add_nc_u32_e32 v6, 1, v2
; %bb.295:
	s_or_b32 exec_lo, exec_lo, s1
	v_add_nc_u32_e32 v7, s25, v3
	v_mov_b32_e32 v8, v4
	s_mov_b32 s1, exec_lo
	v_cmpx_ge_i32_e64 v19, v4
; %bb.296:
	ds_read_b32 v8, v9 offset:1028
	v_add_nc_u32_e32 v7, 1, v7
; %bb.297:
	s_or_b32 exec_lo, exec_lo, s1
	s_waitcnt lgkmcnt(0)
	v_mov_b32_e32 v20, v18
	v_mov_b32_e32 v9, v6
	s_mov_b32 s1, exec_lo
	v_cmpx_ge_i32_e64 v8, v18
; %bb.298:
	v_lshlrev_b32_e32 v9, 2, v6
	ds_read_b32 v20, v9 offset:1028
	v_add_nc_u32_e32 v9, 1, v6
; %bb.299:
	s_or_b32 exec_lo, exec_lo, s1
	v_mov_b32_e32 v10, v8
	v_mov_b32_e32 v11, v7
	s_mov_b32 s1, exec_lo
	v_cmpx_ge_i32_e64 v18, v8
; %bb.300:
	v_lshlrev_b32_e32 v10, 2, v7
	v_add_nc_u32_e32 v11, 1, v7
	ds_read_b32 v10, v10 offset:1028
; %bb.301:
	s_or_b32 exec_lo, exec_lo, s1
	s_waitcnt lgkmcnt(0)
	v_mov_b32_e32 v21, v20
	v_mov_b32_e32 v12, v9
	s_mov_b32 s1, exec_lo
	v_cmpx_ge_i32_e64 v10, v20
; %bb.302:
	v_lshlrev_b32_e32 v12, 2, v9
	ds_read_b32 v21, v12 offset:1028
	v_add_nc_u32_e32 v12, 1, v9
; %bb.303:
	s_or_b32 exec_lo, exec_lo, s1
	v_mov_b32_e32 v13, v10
	v_mov_b32_e32 v14, v11
	s_mov_b32 s1, exec_lo
	v_cmpx_ge_i32_e64 v20, v10
; %bb.304:
	v_lshlrev_b32_e32 v13, 2, v11
	v_add_nc_u32_e32 v14, 1, v11
	ds_read_b32 v13, v13 offset:1028
; %bb.305:
	s_or_b32 exec_lo, exec_lo, s1
	s_waitcnt lgkmcnt(0)
	v_mov_b32_e32 v23, v21
	v_mov_b32_e32 v15, v12
	s_mov_b32 s1, exec_lo
	v_cmpx_ge_i32_e64 v13, v21
; %bb.306:
	v_lshlrev_b32_e32 v15, 2, v12
	ds_read_b32 v23, v15 offset:1028
	v_add_nc_u32_e32 v15, 1, v12
; %bb.307:
	s_or_b32 exec_lo, exec_lo, s1
	v_mov_b32_e32 v16, v13
	v_mov_b32_e32 v17, v14
	s_mov_b32 s1, exec_lo
	v_cmpx_ge_i32_e64 v21, v13
; %bb.308:
	v_lshlrev_b32_e32 v16, 2, v14
	v_add_nc_u32_e32 v17, 1, v14
	ds_read_b32 v16, v16 offset:1028
; %bb.309:
	s_or_b32 exec_lo, exec_lo, s1
	s_waitcnt lgkmcnt(0)
	v_mov_b32_e32 v24, v23
	v_mov_b32_e32 v35, v15
	s_mov_b32 s1, exec_lo
	v_cmpx_ge_i32_e64 v16, v23
; %bb.310:
	v_lshlrev_b32_e32 v24, 2, v15
	v_add_nc_u32_e32 v35, 1, v15
	ds_read_b32 v24, v24 offset:1028
; %bb.311:
	s_or_b32 exec_lo, exec_lo, s1
	v_mov_b32_e32 v36, v16
	v_mov_b32_e32 v37, v17
	s_mov_b32 s1, exec_lo
	v_cmpx_ge_i32_e64 v23, v16
; %bb.312:
	v_lshlrev_b32_e32 v25, 2, v17
	v_add_nc_u32_e32 v37, 1, v17
	ds_read_b32 v36, v25 offset:1028
; %bb.313:
	s_or_b32 exec_lo, exec_lo, s1
	s_waitcnt lgkmcnt(0)
	v_mov_b32_e32 v25, v24
	v_mov_b32_e32 v38, v35
	s_mov_b32 s1, exec_lo
	v_cmpx_ge_i32_e64 v36, v24
; %bb.314:
	v_lshlrev_b32_e32 v25, 2, v35
	v_add_nc_u32_e32 v38, 1, v35
	ds_read_b32 v25, v25 offset:1028
; %bb.315:
	s_or_b32 exec_lo, exec_lo, s1
	v_mov_b32_e32 v39, v36
	v_mov_b32_e32 v40, v37
	s_mov_b32 s1, exec_lo
	v_cmpx_ge_i32_e64 v24, v36
; %bb.316:
	v_lshlrev_b32_e32 v26, 2, v37
	v_add_nc_u32_e32 v40, 1, v37
	ds_read_b32 v39, v26 offset:1028
	;; [unrolled: 21-line block ×10, first 2 shown]
; %bb.349:
	s_or_b32 exec_lo, exec_lo, s1
	s_waitcnt lgkmcnt(0)
	v_mov_b32_e32 v34, v33
	v_mov_b32_e32 v65, v62
	s_mov_b32 s1, exec_lo
	v_cmpx_ge_i32_e64 v64, v33
; %bb.350:
	v_lshlrev_b32_e32 v34, 2, v62
	v_add_nc_u32_e32 v65, 1, v62
	ds_read_b32 v34, v34 offset:1028
; %bb.351:
	s_or_b32 exec_lo, exec_lo, s1
	v_mov_b32_e32 v67, v64
	v_mov_b32_e32 v66, v63
	s_mov_b32 s1, exec_lo
	v_cmpx_ge_i32_e64 v33, v64
; %bb.352:
	v_lshlrev_b32_e32 v66, 2, v63
	ds_read_b32 v67, v66 offset:1028
	v_add_nc_u32_e32 v66, 1, v63
; %bb.353:
	s_or_b32 exec_lo, exec_lo, s1
	v_add_nc_u32_sdwa v68, v5, s25 dst_sel:DWORD dst_unused:UNUSED_PAD src0_sel:WORD_0 src1_sel:DWORD
	v_cmp_ge_i32_sdwa s7, v59, sext(v5) src0_sel:DWORD src1_sel:WORD_1
	v_cmp_ge_i32_sdwa s10, v47, sext(v5) src0_sel:DWORD src1_sel:WORD_1
	;; [unrolled: 1-line block ×4, first 2 shown]
	v_cmp_ge_i32_e64 s4, v61, v68
	v_cmp_ge_i32_e64 s11, v37, v68
	v_cmp_ge_i32_sdwa s18, v12, sext(v5) src0_sel:DWORD src1_sel:WORD_1
	v_cmp_ge_i32_sdwa s17, v15, sext(v5) src0_sel:DWORD src1_sel:WORD_1
	;; [unrolled: 1-line block ×3, first 2 shown]
	s_or_b32 s26, s7, s4
	v_cmp_ge_i32_e64 s7, v49, v68
	s_or_b32 s35, s15, s11
	v_cmp_ge_i32_e64 s15, v14, v68
	v_cmp_ge_i32_e64 s16, v11, v68
	v_cmp_gt_i32_sdwa s39, sext(v5), v2 src0_sel:WORD_1 src1_sel:DWORD
	s_or_b32 s30, s10, s7
	v_cmp_ge_i32_e64 s10, v40, v68
	s_or_b32 s38, s18, s15
	v_cmp_ne_u32_e64 s15, v10, v20
	s_or_b32 s18, s36, s16
	v_cmp_ge_i32_sdwa s36, v6, sext(v5) src0_sel:DWORD src1_sel:WORD_1
	s_or_b32 s34, s14, s10
	v_cmp_ge_i32_e64 s14, v17, v68
	v_cmp_gt_i32_sdwa s40, v5, v3 src0_sel:WORD_0 src1_sel:DWORD
	v_cmp_ne_u32_e64 s16, v8, v18
	s_or_b32 s18, s15, s18
	v_cmp_eq_u32_e64 s15, v4, v19
	s_or_b32 s37, s17, s14
	v_cmp_ge_i32_e64 s17, v7, v68
	v_cmp_ge_i32_sdwa s5, v65, sext(v5) src0_sel:DWORD src1_sel:WORD_1
	v_cmp_ge_i32_e64 s2, v66, v68
	v_cmp_ge_i32_sdwa s6, v62, sext(v5) src0_sel:DWORD src1_sel:WORD_1
	v_cmp_ge_i32_e64 s3, v63, v68
	s_or_b32 s17, s36, s17
	s_and_b32 s36, s39, s40
	v_cmp_ne_u32_e64 s11, v16, v23
	v_cmp_ne_u32_e64 s14, v13, v21
	s_or_b32 s16, s16, s17
	s_and_b32 s15, s36, s15
	v_cmp_ge_i32_sdwa s8, v56, sext(v5) src0_sel:DWORD src1_sel:WORD_1
	s_or_b32 s19, s5, s2
	v_cmp_ge_i32_e64 s2, v58, v68
	v_cndmask_b32_e64 v2, 4, 0, s18
	v_cndmask_b32_e64 v3, 2, 0, s16
	;; [unrolled: 1-line block ×3, first 2 shown]
	s_or_b32 s25, s6, s3
	v_cmp_ge_i32_sdwa s9, v50, sext(v5) src0_sel:DWORD src1_sel:WORD_1
	v_cmp_ge_i32_e64 s6, v52, v68
	v_cmp_ne_u32_e64 s13, v39, v25
	v_cmp_ne_u32_e64 s10, v36, v24
	s_or_b32 s11, s11, s37
	s_or_b32 s14, s14, s38
	;; [unrolled: 1-line block ×3, first 2 shown]
	v_cmp_ge_i32_sdwa s8, v53, sext(v5) src0_sel:DWORD src1_sel:WORD_1
	v_cmp_ge_i32_sdwa s31, v44, sext(v5) src0_sel:DWORD src1_sel:WORD_1
	;; [unrolled: 1-line block ×3, first 2 shown]
	v_cndmask_b32_e64 v5, 16, 0, s11
	v_cndmask_b32_e64 v6, 8, 0, s14
	v_or3_b32 v2, v3, v4, v2
	v_cmp_ge_i32_e64 s5, v55, v68
	v_cmp_ge_i32_e64 s12, v42, v68
	s_or_b32 s29, s9, s6
	v_cmp_ne_u32_e64 s9, v43, v26
	s_or_b32 s13, s13, s34
	s_or_b32 s10, s10, s35
	v_cndmask_b32_e64 v3, 64, 0, s13
	v_cndmask_b32_e64 v4, 32, 0, s10
	v_or3_b32 v2, v2, v6, v5
	s_or_b32 s28, s8, s5
	v_cmp_ne_u32_e64 s6, v48, v28
	v_cmp_ge_i32_e64 s8, v46, v68
	s_or_b32 s12, s33, s12
	v_cmp_ne_u32_e64 s7, v45, v27
	s_or_b32 s9, s9, s12
	v_or3_b32 v40, v2, v4, v3
	v_cndmask_b32_e64 v5, 0x80, 0, s9
	v_cmp_ne_u32_e64 s2, v54, v30
	s_or_b32 s8, s31, s8
	s_or_b32 s6, s6, s30
	v_cmp_ne_u32_e64 s5, v51, v29
	v_cndmask_b32_e64 v2, 0x200, 0, s6
	s_or_b32 s6, s7, s8
	v_or_b32_e32 v39, v5, v40
	v_cndmask_b32_e64 v3, 0x100, 0, s6
	v_cmp_ne_u32_e64 s3, v60, v32
	s_or_b32 s2, s2, s28
	v_cmp_ne_u32_e64 s4, v57, v31
	v_cndmask_b32_e64 v4, 0x800, 0, s2
	s_or_b32 s2, s5, s29
	v_or3_b32 v38, v3, v2, v39
	v_cndmask_b32_e64 v5, 0x400, 0, s2
	s_or_b32 s2, s3, s26
	s_waitcnt lgkmcnt(0)
	v_cmp_ne_u32_e32 vcc_lo, v67, v34
	v_cmp_ne_u32_e64 s1, v64, v33
	v_cndmask_b32_e64 v2, 0x2000, 0, s2
	s_or_b32 s2, s4, s27
	v_or3_b32 v37, v5, v4, v38
	v_cndmask_b32_e64 v3, 0x1000, 0, s2
	s_or_b32 s2, vcc_lo, s19
	s_or_b32 s1, s1, s25
	v_cndmask_b32_e64 v4, 0x8000, 0, s2
	v_cndmask_b32_e64 v5, 0x4000, 0, s1
	v_or3_b32 v36, v3, v2, v37
	v_mov_b32_e32 v11, 0
	v_mbcnt_lo_u32_b32 v41, -1, 0
	s_mov_b32 s1, -1
	s_cmp_lg_u32 s24, 0
	v_or3_b32 v35, v5, v4, v36
	s_barrier
	buffer_gl0_inv
	v_bcnt_u32_b32 v10, v35, 0
	s_cbranch_scc0 .LBB23_411
; %bb.354:
	v_mov_b32_e32 v2, v10
	v_and_b32_e32 v6, 15, v41
	v_mov_b32_dpp v8, v10 row_shr:1 row_mask:0xf bank_mask:0xf
	v_mov_b32_dpp v7, v11 row_shr:1 row_mask:0xf bank_mask:0xf
	v_mov_b32_e32 v5, v10
	v_mov_b32_e32 v4, v11
	;; [unrolled: 1-line block ×3, first 2 shown]
	s_mov_b32 s1, exec_lo
	v_cmpx_ne_u32_e32 0, v6
; %bb.355:
	v_add_co_u32 v5, s2, v8, v10
	v_add_co_ci_u32_e64 v2, null, 0, 0, s2
	v_add_co_u32 v3, vcc_lo, 0, v5
	v_add_co_ci_u32_e64 v4, null, v7, v2, vcc_lo
	v_mov_b32_e32 v2, v3
	v_mov_b32_e32 v3, v4
; %bb.356:
	s_or_b32 exec_lo, exec_lo, s1
	v_mov_b32_dpp v8, v5 row_shr:2 row_mask:0xf bank_mask:0xf
	v_mov_b32_dpp v7, v4 row_shr:2 row_mask:0xf bank_mask:0xf
	s_mov_b32 s1, exec_lo
	v_cmpx_lt_u32_e32 1, v6
; %bb.357:
	v_add_co_u32 v5, vcc_lo, v2, v8
	v_add_co_ci_u32_e64 v2, null, 0, v3, vcc_lo
	v_add_co_u32 v3, vcc_lo, 0, v5
	v_add_co_ci_u32_e64 v4, null, v7, v2, vcc_lo
	v_mov_b32_e32 v2, v3
	v_mov_b32_e32 v3, v4
; %bb.358:
	s_or_b32 exec_lo, exec_lo, s1
	v_mov_b32_dpp v8, v5 row_shr:4 row_mask:0xf bank_mask:0xf
	v_mov_b32_dpp v7, v4 row_shr:4 row_mask:0xf bank_mask:0xf
	s_mov_b32 s1, exec_lo
	v_cmpx_lt_u32_e32 3, v6
; %bb.359:
	v_add_co_u32 v5, vcc_lo, v2, v8
	v_add_co_ci_u32_e64 v2, null, 0, v3, vcc_lo
	v_add_co_u32 v3, vcc_lo, 0, v5
	v_add_co_ci_u32_e64 v4, null, v7, v2, vcc_lo
	v_mov_b32_e32 v2, v3
	v_mov_b32_e32 v3, v4
; %bb.360:
	s_or_b32 exec_lo, exec_lo, s1
	v_mov_b32_dpp v8, v5 row_shr:8 row_mask:0xf bank_mask:0xf
	v_mov_b32_dpp v7, v4 row_shr:8 row_mask:0xf bank_mask:0xf
	s_mov_b32 s1, exec_lo
	v_cmpx_lt_u32_e32 7, v6
; %bb.361:
	v_add_co_u32 v5, vcc_lo, v2, v8
	v_add_co_ci_u32_e64 v3, null, 0, v3, vcc_lo
	v_add_co_u32 v2, vcc_lo, 0, v5
	v_add_co_ci_u32_e64 v3, null, v7, v3, vcc_lo
	v_mov_b32_e32 v4, v3
; %bb.362:
	s_or_b32 exec_lo, exec_lo, s1
	ds_swizzle_b32 v6, v5 offset:swizzle(BROADCAST,32,15)
	ds_swizzle_b32 v4, v4 offset:swizzle(BROADCAST,32,15)
	v_and_b32_e32 v7, 16, v41
	s_mov_b32 s1, exec_lo
	v_cmpx_ne_u32_e32 0, v7
	s_cbranch_execz .LBB23_364
; %bb.363:
	s_waitcnt lgkmcnt(1)
	v_add_co_u32 v5, vcc_lo, v2, v6
	v_add_co_ci_u32_e64 v3, null, 0, v3, vcc_lo
	v_add_co_u32 v2, vcc_lo, 0, v5
	s_waitcnt lgkmcnt(0)
	v_add_co_ci_u32_e64 v3, null, v4, v3, vcc_lo
.LBB23_364:
	s_or_b32 exec_lo, exec_lo, s1
	s_waitcnt lgkmcnt(1)
	v_or_b32_e32 v6, 31, v0
	s_waitcnt lgkmcnt(0)
	v_lshrrev_b32_e32 v4, 5, v0
	s_mov_b32 s1, exec_lo
	v_cmpx_eq_u32_e64 v0, v6
; %bb.365:
	v_lshlrev_b32_e32 v6, 3, v4
	ds_write_b64 v6, v[2:3]
; %bb.366:
	s_or_b32 exec_lo, exec_lo, s1
	s_mov_b32 s1, exec_lo
	s_waitcnt lgkmcnt(0)
	s_barrier
	buffer_gl0_inv
	v_cmpx_gt_u32_e32 8, v0
	s_cbranch_execz .LBB23_374
; %bb.367:
	v_lshlrev_b32_e32 v6, 3, v0
	v_and_b32_e32 v7, 7, v41
	s_mov_b32 s2, exec_lo
	ds_read_b64 v[2:3], v6
	s_waitcnt lgkmcnt(0)
	v_mov_b32_dpp v12, v2 row_shr:1 row_mask:0xf bank_mask:0xf
	v_mov_b32_dpp v9, v3 row_shr:1 row_mask:0xf bank_mask:0xf
	v_mov_b32_e32 v8, v2
	v_cmpx_ne_u32_e32 0, v7
; %bb.368:
	v_add_co_u32 v8, vcc_lo, v2, v12
	v_add_co_ci_u32_e64 v3, null, 0, v3, vcc_lo
	v_add_co_u32 v2, vcc_lo, 0, v8
	v_add_co_ci_u32_e64 v3, null, v9, v3, vcc_lo
; %bb.369:
	s_or_b32 exec_lo, exec_lo, s2
	v_mov_b32_dpp v12, v8 row_shr:2 row_mask:0xf bank_mask:0xf
	v_mov_b32_dpp v9, v3 row_shr:2 row_mask:0xf bank_mask:0xf
	s_mov_b32 s2, exec_lo
	v_cmpx_lt_u32_e32 1, v7
; %bb.370:
	v_add_co_u32 v8, vcc_lo, v2, v12
	v_add_co_ci_u32_e64 v3, null, 0, v3, vcc_lo
	v_add_co_u32 v2, vcc_lo, 0, v8
	v_add_co_ci_u32_e64 v3, null, v9, v3, vcc_lo
; %bb.371:
	s_or_b32 exec_lo, exec_lo, s2
	v_mov_b32_dpp v9, v8 row_shr:4 row_mask:0xf bank_mask:0xf
	v_mov_b32_dpp v8, v3 row_shr:4 row_mask:0xf bank_mask:0xf
	s_mov_b32 s2, exec_lo
	v_cmpx_lt_u32_e32 3, v7
; %bb.372:
	v_add_co_u32 v2, vcc_lo, v2, v9
	v_add_co_ci_u32_e64 v3, null, 0, v3, vcc_lo
	v_add_co_u32 v2, vcc_lo, v2, 0
	v_add_co_ci_u32_e64 v3, null, v3, v8, vcc_lo
; %bb.373:
	s_or_b32 exec_lo, exec_lo, s2
	ds_write_b64 v6, v[2:3]
.LBB23_374:
	s_or_b32 exec_lo, exec_lo, s1
	s_mov_b32 s2, exec_lo
	v_cmp_gt_u32_e32 vcc_lo, 32, v0
	s_waitcnt lgkmcnt(0)
	s_barrier
	buffer_gl0_inv
                                        ; implicit-def: $vgpr12_vgpr13
	v_cmpx_lt_u32_e32 31, v0
	s_cbranch_execz .LBB23_376
; %bb.375:
	v_lshl_add_u32 v2, v4, 3, -8
	ds_read_b64 v[12:13], v2
	s_waitcnt lgkmcnt(0)
	v_add_nc_u32_e32 v5, v5, v12
.LBB23_376:
	s_or_b32 exec_lo, exec_lo, s2
	v_sub_co_u32 v2, s1, v41, 1
	v_cmp_gt_i32_e64 s2, 0, v2
	v_cndmask_b32_e64 v2, v2, v41, s2
	v_lshlrev_b32_e32 v2, 2, v2
	ds_bpermute_b32 v42, v2, v5
	s_and_saveexec_b32 s2, vcc_lo
	s_cbranch_execz .LBB23_416
; %bb.377:
	v_mov_b32_e32 v5, 0
	ds_read_b64 v[2:3], v5 offset:56
	s_and_saveexec_b32 s3, s1
	s_cbranch_execz .LBB23_379
; %bb.378:
	s_add_i32 s4, s24, 32
	s_mov_b32 s5, 0
	v_mov_b32_e32 v4, 1
	s_lshl_b64 s[4:5], s[4:5], 4
	s_add_u32 s4, s20, s4
	s_addc_u32 s5, s21, s5
	v_mov_b32_e32 v7, s5
	v_mov_b32_e32 v6, s4
	s_waitcnt lgkmcnt(0)
	;;#ASMSTART
	global_store_dwordx4 v[6:7], v[2:5] off	
s_waitcnt vmcnt(0)
	;;#ASMEND
.LBB23_379:
	s_or_b32 exec_lo, exec_lo, s3
	v_xad_u32 v14, v41, -1, s24
	s_mov_b32 s4, 0
	v_add_nc_u32_e32 v4, 32, v14
	v_lshlrev_b64 v[6:7], 4, v[4:5]
	v_add_co_u32 v15, vcc_lo, s20, v6
	v_add_co_ci_u32_e64 v16, null, s21, v7, vcc_lo
	;;#ASMSTART
	global_load_dwordx4 v[6:9], v[15:16] off glc dlc	
s_waitcnt vmcnt(0)
	;;#ASMEND
	v_cmp_eq_u16_sdwa s5, v8, v5 src0_sel:BYTE_0 src1_sel:DWORD
	s_and_saveexec_b32 s3, s5
	s_cbranch_execz .LBB23_383
; %bb.380:
	v_mov_b32_e32 v4, 0
.LBB23_381:                             ; =>This Inner Loop Header: Depth=1
	;;#ASMSTART
	global_load_dwordx4 v[6:9], v[15:16] off glc dlc	
s_waitcnt vmcnt(0)
	;;#ASMEND
	v_cmp_ne_u16_sdwa s5, v8, v4 src0_sel:BYTE_0 src1_sel:DWORD
	s_or_b32 s4, s5, s4
	s_andn2_b32 exec_lo, exec_lo, s4
	s_cbranch_execnz .LBB23_381
; %bb.382:
	s_or_b32 exec_lo, exec_lo, s4
.LBB23_383:
	s_or_b32 exec_lo, exec_lo, s3
	v_cmp_ne_u32_e32 vcc_lo, 31, v41
	v_mov_b32_e32 v5, 2
	v_lshlrev_b32_e64 v44, v41, -1
	v_add_co_ci_u32_e64 v4, null, 0, v41, vcc_lo
	v_cmp_eq_u16_sdwa s3, v8, v5 src0_sel:BYTE_0 src1_sel:DWORD
	v_mov_b32_e32 v5, v6
	v_lshlrev_b32_e32 v43, 2, v4
	v_and_or_b32 v4, s3, v44, 0x80000000
	s_mov_b32 s3, exec_lo
	ds_bpermute_b32 v15, v43, v6
	ds_bpermute_b32 v9, v43, v7
	v_ffbl_b32_e32 v4, v4
	v_cmpx_lt_u32_e64 v41, v4
	s_cbranch_execz .LBB23_385
; %bb.384:
	s_waitcnt lgkmcnt(1)
	v_add_co_u32 v5, vcc_lo, v6, v15
	v_add_co_ci_u32_e64 v7, null, 0, v7, vcc_lo
	v_add_co_u32 v6, vcc_lo, 0, v5
	s_waitcnt lgkmcnt(0)
	v_add_co_ci_u32_e64 v7, null, v9, v7, vcc_lo
.LBB23_385:
	s_or_b32 exec_lo, exec_lo, s3
	v_cmp_gt_u32_e32 vcc_lo, 30, v41
	v_add_nc_u32_e32 v46, 2, v41
	s_mov_b32 s3, exec_lo
	s_waitcnt lgkmcnt(0)
	v_cndmask_b32_e64 v9, 0, 2, vcc_lo
	v_add_lshl_u32 v45, v9, v41, 2
	ds_bpermute_b32 v15, v45, v5
	ds_bpermute_b32 v9, v45, v7
	v_cmpx_le_u32_e64 v46, v4
	s_cbranch_execz .LBB23_387
; %bb.386:
	s_waitcnt lgkmcnt(1)
	v_add_co_u32 v5, vcc_lo, v6, v15
	v_add_co_ci_u32_e64 v7, null, 0, v7, vcc_lo
	v_add_co_u32 v6, vcc_lo, 0, v5
	s_waitcnt lgkmcnt(0)
	v_add_co_ci_u32_e64 v7, null, v9, v7, vcc_lo
.LBB23_387:
	s_or_b32 exec_lo, exec_lo, s3
	v_cmp_gt_u32_e32 vcc_lo, 28, v41
	v_add_nc_u32_e32 v48, 4, v41
	s_mov_b32 s3, exec_lo
	s_waitcnt lgkmcnt(0)
	v_cndmask_b32_e64 v9, 0, 4, vcc_lo
	v_add_lshl_u32 v47, v9, v41, 2
	ds_bpermute_b32 v15, v47, v5
	ds_bpermute_b32 v9, v47, v7
	v_cmpx_le_u32_e64 v48, v4
	;; [unrolled: 19-line block ×3, first 2 shown]
	s_cbranch_execz .LBB23_391
; %bb.390:
	s_waitcnt lgkmcnt(1)
	v_add_co_u32 v5, vcc_lo, v6, v15
	v_add_co_ci_u32_e64 v7, null, 0, v7, vcc_lo
	v_add_co_u32 v6, vcc_lo, 0, v5
	s_waitcnt lgkmcnt(0)
	v_add_co_ci_u32_e64 v7, null, v9, v7, vcc_lo
.LBB23_391:
	s_or_b32 exec_lo, exec_lo, s3
	v_lshl_or_b32 v51, v41, 2, 64
	v_add_nc_u32_e32 v52, 16, v41
	s_mov_b32 s3, exec_lo
	s_waitcnt lgkmcnt(0)
	ds_bpermute_b32 v9, v51, v5
	ds_bpermute_b32 v5, v51, v7
	v_cmpx_le_u32_e64 v52, v4
	s_cbranch_execz .LBB23_393
; %bb.392:
	s_waitcnt lgkmcnt(1)
	v_add_co_u32 v4, vcc_lo, v6, v9
	v_add_co_ci_u32_e64 v7, null, 0, v7, vcc_lo
	v_add_co_u32 v6, vcc_lo, v4, 0
	s_waitcnt lgkmcnt(0)
	v_add_co_ci_u32_e64 v7, null, v7, v5, vcc_lo
.LBB23_393:
	s_or_b32 exec_lo, exec_lo, s3
	v_mov_b32_e32 v15, 0
	v_mov_b32_e32 v53, 2
	s_branch .LBB23_396
.LBB23_394:                             ;   in Loop: Header=BB23_396 Depth=1
	s_or_b32 exec_lo, exec_lo, s3
	v_add_co_u32 v6, vcc_lo, v6, v4
	v_subrev_nc_u32_e32 v14, 32, v14
	v_add_co_ci_u32_e64 v7, null, v7, v5, vcc_lo
	s_mov_b32 s3, 0
.LBB23_395:                             ;   in Loop: Header=BB23_396 Depth=1
	s_and_b32 vcc_lo, exec_lo, s3
	s_cbranch_vccnz .LBB23_412
.LBB23_396:                             ; =>This Loop Header: Depth=1
                                        ;     Child Loop BB23_399 Depth 2
	v_cmp_ne_u16_sdwa s3, v8, v53 src0_sel:BYTE_0 src1_sel:DWORD
	s_waitcnt lgkmcnt(0)
	v_mov_b32_e32 v4, v6
	v_mov_b32_e32 v5, v7
                                        ; implicit-def: $vgpr6_vgpr7
	s_cmp_lg_u32 s3, exec_lo
	s_mov_b32 s3, -1
	s_cbranch_scc1 .LBB23_395
; %bb.397:                              ;   in Loop: Header=BB23_396 Depth=1
	v_lshlrev_b64 v[6:7], 4, v[14:15]
	v_add_co_u32 v16, vcc_lo, s20, v6
	v_add_co_ci_u32_e64 v17, null, s21, v7, vcc_lo
	;;#ASMSTART
	global_load_dwordx4 v[6:9], v[16:17] off glc dlc	
s_waitcnt vmcnt(0)
	;;#ASMEND
	v_cmp_eq_u16_sdwa s4, v8, v15 src0_sel:BYTE_0 src1_sel:DWORD
	s_and_saveexec_b32 s3, s4
	s_cbranch_execz .LBB23_401
; %bb.398:                              ;   in Loop: Header=BB23_396 Depth=1
	s_mov_b32 s4, 0
.LBB23_399:                             ;   Parent Loop BB23_396 Depth=1
                                        ; =>  This Inner Loop Header: Depth=2
	;;#ASMSTART
	global_load_dwordx4 v[6:9], v[16:17] off glc dlc	
s_waitcnt vmcnt(0)
	;;#ASMEND
	v_cmp_ne_u16_sdwa s5, v8, v15 src0_sel:BYTE_0 src1_sel:DWORD
	s_or_b32 s4, s5, s4
	s_andn2_b32 exec_lo, exec_lo, s4
	s_cbranch_execnz .LBB23_399
; %bb.400:                              ;   in Loop: Header=BB23_396 Depth=1
	s_or_b32 exec_lo, exec_lo, s4
.LBB23_401:                             ;   in Loop: Header=BB23_396 Depth=1
	s_or_b32 exec_lo, exec_lo, s3
	ds_bpermute_b32 v54, v43, v6
	ds_bpermute_b32 v17, v43, v7
	v_cmp_eq_u16_sdwa s3, v8, v53 src0_sel:BYTE_0 src1_sel:DWORD
	v_mov_b32_e32 v16, v6
	v_and_or_b32 v9, s3, v44, 0x80000000
	s_mov_b32 s3, exec_lo
	v_ffbl_b32_e32 v9, v9
	v_cmpx_lt_u32_e64 v41, v9
	s_cbranch_execz .LBB23_403
; %bb.402:                              ;   in Loop: Header=BB23_396 Depth=1
	s_waitcnt lgkmcnt(1)
	v_add_co_u32 v16, vcc_lo, v6, v54
	v_add_co_ci_u32_e64 v7, null, 0, v7, vcc_lo
	v_add_co_u32 v6, vcc_lo, 0, v16
	s_waitcnt lgkmcnt(0)
	v_add_co_ci_u32_e64 v7, null, v17, v7, vcc_lo
.LBB23_403:                             ;   in Loop: Header=BB23_396 Depth=1
	s_or_b32 exec_lo, exec_lo, s3
	s_waitcnt lgkmcnt(1)
	ds_bpermute_b32 v54, v45, v16
	s_waitcnt lgkmcnt(1)
	ds_bpermute_b32 v17, v45, v7
	s_mov_b32 s3, exec_lo
	v_cmpx_le_u32_e64 v46, v9
	s_cbranch_execz .LBB23_405
; %bb.404:                              ;   in Loop: Header=BB23_396 Depth=1
	s_waitcnt lgkmcnt(1)
	v_add_co_u32 v16, vcc_lo, v6, v54
	v_add_co_ci_u32_e64 v7, null, 0, v7, vcc_lo
	v_add_co_u32 v6, vcc_lo, 0, v16
	s_waitcnt lgkmcnt(0)
	v_add_co_ci_u32_e64 v7, null, v17, v7, vcc_lo
.LBB23_405:                             ;   in Loop: Header=BB23_396 Depth=1
	s_or_b32 exec_lo, exec_lo, s3
	s_waitcnt lgkmcnt(1)
	ds_bpermute_b32 v54, v47, v16
	s_waitcnt lgkmcnt(1)
	ds_bpermute_b32 v17, v47, v7
	s_mov_b32 s3, exec_lo
	v_cmpx_le_u32_e64 v48, v9
	;; [unrolled: 16-line block ×3, first 2 shown]
	s_cbranch_execz .LBB23_409
; %bb.408:                              ;   in Loop: Header=BB23_396 Depth=1
	s_waitcnt lgkmcnt(1)
	v_add_co_u32 v16, vcc_lo, v6, v54
	v_add_co_ci_u32_e64 v7, null, 0, v7, vcc_lo
	v_add_co_u32 v6, vcc_lo, 0, v16
	s_waitcnt lgkmcnt(0)
	v_add_co_ci_u32_e64 v7, null, v17, v7, vcc_lo
.LBB23_409:                             ;   in Loop: Header=BB23_396 Depth=1
	s_or_b32 exec_lo, exec_lo, s3
	s_waitcnt lgkmcnt(0)
	ds_bpermute_b32 v17, v51, v16
	ds_bpermute_b32 v16, v51, v7
	s_mov_b32 s3, exec_lo
	v_cmpx_le_u32_e64 v52, v9
	s_cbranch_execz .LBB23_394
; %bb.410:                              ;   in Loop: Header=BB23_396 Depth=1
	s_waitcnt lgkmcnt(1)
	v_add_co_u32 v6, vcc_lo, v6, v17
	v_add_co_ci_u32_e64 v7, null, 0, v7, vcc_lo
	v_add_co_u32 v6, vcc_lo, v6, 0
	s_waitcnt lgkmcnt(0)
	v_add_co_ci_u32_e64 v7, null, v7, v16, vcc_lo
	s_branch .LBB23_394
.LBB23_411:
                                        ; implicit-def: $vgpr4_vgpr5
                                        ; implicit-def: $vgpr6_vgpr7
	s_and_b32 vcc_lo, exec_lo, s1
	s_cbranch_vccnz .LBB23_417
	s_branch .LBB23_442
.LBB23_412:
	s_and_saveexec_b32 s3, s1
	s_cbranch_execz .LBB23_414
; %bb.413:
	s_add_i32 s4, s24, 32
	s_mov_b32 s5, 0
	v_add_co_u32 v6, vcc_lo, v4, v2
	s_lshl_b64 s[4:5], s[4:5], 4
	v_mov_b32_e32 v9, 0
	s_add_u32 s4, s20, s4
	s_addc_u32 s5, s21, s5
	v_add_co_ci_u32_e64 v7, null, v5, v3, vcc_lo
	v_mov_b32_e32 v15, s5
	v_mov_b32_e32 v8, 2
	;; [unrolled: 1-line block ×3, first 2 shown]
	;;#ASMSTART
	global_store_dwordx4 v[14:15], v[6:9] off	
s_waitcnt vmcnt(0)
	;;#ASMEND
	ds_write_b128 v9, v[2:5] offset:64
.LBB23_414:
	s_or_b32 exec_lo, exec_lo, s3
	s_and_b32 exec_lo, exec_lo, s0
; %bb.415:
	v_mov_b32_e32 v2, 0
	ds_write_b64 v2, v[4:5] offset:56
.LBB23_416:
	s_or_b32 exec_lo, exec_lo, s2
	v_mov_b32_e32 v2, 0
	s_waitcnt lgkmcnt(0)
	s_barrier
	buffer_gl0_inv
	v_cndmask_b32_e64 v8, 0, v13, s1
	ds_read_b64 v[6:7], v2 offset:56
	s_waitcnt lgkmcnt(0)
	s_barrier
	buffer_gl0_inv
	ds_read_b128 v[2:5], v2 offset:64
	s_waitcnt lgkmcnt(0)
	v_cndmask_b32_e64 v3, v42, v12, s1
	v_cndmask_b32_e64 v8, v8, 0, s0
	;; [unrolled: 1-line block ×3, first 2 shown]
	v_add_co_u32 v6, vcc_lo, v6, v3
	v_add_co_ci_u32_e64 v3, null, v7, v8, vcc_lo
	s_branch .LBB23_442
.LBB23_417:
	v_mov_b32_e32 v4, 0
	v_mov_b32_e32 v2, v10
	v_and_b32_e32 v5, 15, v41
	v_mov_b32_dpp v7, v10 row_shr:1 row_mask:0xf bank_mask:0xf
	v_mov_b32_e32 v3, v11
	v_mov_b32_dpp v6, v4 row_shr:1 row_mask:0xf bank_mask:0xf
	s_mov_b32 s1, exec_lo
	v_cmpx_ne_u32_e32 0, v5
; %bb.418:
	v_add_co_u32 v10, s2, v7, v10
	v_add_co_ci_u32_e64 v2, null, 0, 0, s2
	v_add_co_u32 v3, vcc_lo, 0, v10
	v_add_co_ci_u32_e64 v4, null, v6, v2, vcc_lo
	v_mov_b32_e32 v2, v3
	v_mov_b32_e32 v3, v4
; %bb.419:
	s_or_b32 exec_lo, exec_lo, s1
	v_mov_b32_dpp v7, v10 row_shr:2 row_mask:0xf bank_mask:0xf
	v_mov_b32_dpp v6, v4 row_shr:2 row_mask:0xf bank_mask:0xf
	s_mov_b32 s1, exec_lo
	v_cmpx_lt_u32_e32 1, v5
; %bb.420:
	v_add_co_u32 v10, vcc_lo, v2, v7
	v_add_co_ci_u32_e64 v2, null, 0, v3, vcc_lo
	v_add_co_u32 v3, vcc_lo, 0, v10
	v_add_co_ci_u32_e64 v4, null, v6, v2, vcc_lo
	v_mov_b32_e32 v2, v3
	v_mov_b32_e32 v3, v4
; %bb.421:
	s_or_b32 exec_lo, exec_lo, s1
	v_mov_b32_dpp v7, v10 row_shr:4 row_mask:0xf bank_mask:0xf
	v_mov_b32_dpp v6, v4 row_shr:4 row_mask:0xf bank_mask:0xf
	s_mov_b32 s1, exec_lo
	v_cmpx_lt_u32_e32 3, v5
; %bb.422:
	v_add_co_u32 v10, vcc_lo, v2, v7
	v_add_co_ci_u32_e64 v2, null, 0, v3, vcc_lo
	;; [unrolled: 13-line block ×3, first 2 shown]
	v_add_co_u32 v2, vcc_lo, 0, v10
	v_add_co_ci_u32_e64 v3, null, v6, v3, vcc_lo
	v_mov_b32_e32 v4, v3
; %bb.425:
	s_or_b32 exec_lo, exec_lo, s1
	ds_swizzle_b32 v5, v10 offset:swizzle(BROADCAST,32,15)
	ds_swizzle_b32 v4, v4 offset:swizzle(BROADCAST,32,15)
	v_and_b32_e32 v6, 16, v41
	s_mov_b32 s1, exec_lo
	v_cmpx_ne_u32_e32 0, v6
	s_cbranch_execz .LBB23_427
; %bb.426:
	s_waitcnt lgkmcnt(1)
	v_add_co_u32 v10, vcc_lo, v2, v5
	v_add_co_ci_u32_e64 v3, null, 0, v3, vcc_lo
	v_add_co_u32 v2, vcc_lo, 0, v10
	s_waitcnt lgkmcnt(0)
	v_add_co_ci_u32_e64 v3, null, v4, v3, vcc_lo
.LBB23_427:
	s_or_b32 exec_lo, exec_lo, s1
	s_waitcnt lgkmcnt(0)
	v_or_b32_e32 v4, 31, v0
	v_lshrrev_b32_e32 v6, 5, v0
	s_mov_b32 s1, exec_lo
	v_cmpx_eq_u32_e64 v0, v4
; %bb.428:
	v_lshlrev_b32_e32 v4, 3, v6
	ds_write_b64 v4, v[2:3]
; %bb.429:
	s_or_b32 exec_lo, exec_lo, s1
	s_mov_b32 s1, exec_lo
	s_waitcnt lgkmcnt(0)
	s_barrier
	buffer_gl0_inv
	v_cmpx_gt_u32_e32 8, v0
	s_cbranch_execz .LBB23_437
; %bb.430:
	v_add_nc_u32_e32 v4, v22, v22
	v_and_b32_e32 v5, 7, v41
	s_mov_b32 s2, exec_lo
	ds_read_b64 v[2:3], v4
	s_waitcnt lgkmcnt(0)
	v_mov_b32_dpp v9, v2 row_shr:1 row_mask:0xf bank_mask:0xf
	v_mov_b32_dpp v8, v3 row_shr:1 row_mask:0xf bank_mask:0xf
	v_mov_b32_e32 v7, v2
	v_cmpx_ne_u32_e32 0, v5
; %bb.431:
	v_add_co_u32 v7, vcc_lo, v2, v9
	v_add_co_ci_u32_e64 v3, null, 0, v3, vcc_lo
	v_add_co_u32 v2, vcc_lo, 0, v7
	v_add_co_ci_u32_e64 v3, null, v8, v3, vcc_lo
; %bb.432:
	s_or_b32 exec_lo, exec_lo, s2
	v_mov_b32_dpp v9, v7 row_shr:2 row_mask:0xf bank_mask:0xf
	v_mov_b32_dpp v8, v3 row_shr:2 row_mask:0xf bank_mask:0xf
	s_mov_b32 s2, exec_lo
	v_cmpx_lt_u32_e32 1, v5
; %bb.433:
	v_add_co_u32 v7, vcc_lo, v2, v9
	v_add_co_ci_u32_e64 v3, null, 0, v3, vcc_lo
	v_add_co_u32 v2, vcc_lo, 0, v7
	v_add_co_ci_u32_e64 v3, null, v8, v3, vcc_lo
; %bb.434:
	s_or_b32 exec_lo, exec_lo, s2
	v_mov_b32_dpp v8, v7 row_shr:4 row_mask:0xf bank_mask:0xf
	v_mov_b32_dpp v7, v3 row_shr:4 row_mask:0xf bank_mask:0xf
	s_mov_b32 s2, exec_lo
	v_cmpx_lt_u32_e32 3, v5
; %bb.435:
	v_add_co_u32 v2, vcc_lo, v2, v8
	v_add_co_ci_u32_e64 v3, null, 0, v3, vcc_lo
	v_add_co_u32 v2, vcc_lo, v2, 0
	v_add_co_ci_u32_e64 v3, null, v3, v7, vcc_lo
; %bb.436:
	s_or_b32 exec_lo, exec_lo, s2
	ds_write_b64 v4, v[2:3]
.LBB23_437:
	s_or_b32 exec_lo, exec_lo, s1
	s_mov_b32 s1, exec_lo
	v_mov_b32_e32 v4, 0
	v_mov_b32_e32 v5, 0
	s_waitcnt lgkmcnt(0)
	s_barrier
	buffer_gl0_inv
	v_cmpx_lt_u32_e32 31, v0
; %bb.438:
	v_lshl_add_u32 v2, v6, 3, -8
	ds_read_b64 v[4:5], v2
; %bb.439:
	s_or_b32 exec_lo, exec_lo, s1
	v_sub_co_u32 v2, vcc_lo, v41, 1
	s_waitcnt lgkmcnt(0)
	v_add_nc_u32_e32 v3, v10, v4
	v_mov_b32_e32 v5, 0
	v_cmp_gt_i32_e64 s1, 0, v2
	v_cndmask_b32_e64 v2, v2, v41, s1
	v_lshlrev_b32_e32 v2, 2, v2
	ds_bpermute_b32 v6, v2, v3
	ds_read_b64 v[2:3], v5 offset:56
	s_waitcnt lgkmcnt(1)
	v_cndmask_b32_e32 v6, v6, v4, vcc_lo
	s_and_saveexec_b32 s1, s0
	s_cbranch_execz .LBB23_441
; %bb.440:
	s_add_u32 s2, s20, 0x200
	s_addc_u32 s3, s21, 0
	v_mov_b32_e32 v4, 2
	v_mov_b32_e32 v8, s3
	;; [unrolled: 1-line block ×3, first 2 shown]
	s_waitcnt lgkmcnt(0)
	;;#ASMSTART
	global_store_dwordx4 v[7:8], v[2:5] off	
s_waitcnt vmcnt(0)
	;;#ASMEND
.LBB23_441:
	s_or_b32 exec_lo, exec_lo, s1
	v_mov_b32_e32 v4, 0
	v_mov_b32_e32 v5, 0
.LBB23_442:
	s_waitcnt lgkmcnt(0)
	v_sub_nc_u32_e32 v3, v6, v4
	s_xor_b32 s0, s10, -1
	s_xor_b32 s1, s11, -1
	;; [unrolled: 1-line block ×5, first 2 shown]
	s_barrier
	buffer_gl0_inv
	s_and_saveexec_b32 s5, s15
	s_cbranch_execnz .LBB23_473
; %bb.443:
	s_or_b32 exec_lo, exec_lo, s5
	s_and_saveexec_b32 s5, s4
	s_cbranch_execnz .LBB23_474
.LBB23_444:
	s_or_b32 exec_lo, exec_lo, s5
	s_and_saveexec_b32 s4, s3
	s_cbranch_execnz .LBB23_475
.LBB23_445:
	s_or_b32 exec_lo, exec_lo, s4
	s_and_saveexec_b32 s3, s2
	s_cbranch_execnz .LBB23_476
.LBB23_446:
	s_or_b32 exec_lo, exec_lo, s3
	s_and_saveexec_b32 s2, s1
	s_cbranch_execnz .LBB23_477
.LBB23_447:
	s_or_b32 exec_lo, exec_lo, s2
	s_and_saveexec_b32 s1, s0
.LBB23_448:
	v_lshlrev_b32_e32 v6, 2, v3
	v_add_nc_u32_e32 v3, 1, v3
	ds_write_b32 v6, v24 offset:1024
.LBB23_449:
	s_or_b32 exec_lo, exec_lo, s1
	v_and_b32_e32 v6, 64, v40
	s_mov_b32 s0, exec_lo
	v_cmpx_ne_u32_e32 0, v6
; %bb.450:
	v_lshlrev_b32_e32 v6, 2, v3
	v_add_nc_u32_e32 v3, 1, v3
	ds_write_b32 v6, v25 offset:1024
; %bb.451:
	s_or_b32 exec_lo, exec_lo, s0
	v_and_b32_e32 v6, 0x80, v39
	s_mov_b32 s0, exec_lo
	v_cmpx_ne_u32_e32 0, v6
; %bb.452:
	v_lshlrev_b32_e32 v6, 2, v3
	v_add_nc_u32_e32 v3, 1, v3
	ds_write_b32 v6, v26 offset:1024
; %bb.453:
	;; [unrolled: 9-line block ×9, first 2 shown]
	s_or_b32 exec_lo, exec_lo, s0
	v_and_b32_e32 v6, 0x8000, v35
	s_mov_b32 s0, exec_lo
	v_cmpx_ne_u32_e32 0, v6
; %bb.468:
	v_lshlrev_b32_e32 v3, 2, v3
	ds_write_b32 v3, v34 offset:1024
; %bb.469:
	s_or_b32 exec_lo, exec_lo, s0
	s_waitcnt lgkmcnt(0)
	s_barrier
	buffer_gl0_inv
	s_mov_b32 s0, exec_lo
	v_cmpx_lt_i32_e64 v0, v2
	s_cbranch_execz .LBB23_472
; %bb.470:
	v_lshlrev_b64 v[3:4], 2, v[4:5]
	v_lshlrev_b64 v[5:6], 2, v[0:1]
	v_lshl_or_b32 v1, v0, 2, 0x400
	s_mov_b32 s1, 0
	v_add_co_u32 v3, vcc_lo, s22, v3
	v_add_co_ci_u32_e64 v4, null, s23, v4, vcc_lo
	v_add_co_u32 v3, vcc_lo, v3, v5
	v_add_co_ci_u32_e64 v4, null, v4, v6, vcc_lo
	.p2align	6
.LBB23_471:                             ; =>This Inner Loop Header: Depth=1
	ds_read_b32 v5, v1
	v_add_nc_u32_e32 v0, 0x100, v0
	v_add_nc_u32_e32 v1, 0x400, v1
	v_cmp_ge_i32_e32 vcc_lo, v0, v2
	s_or_b32 s1, vcc_lo, s1
	s_waitcnt lgkmcnt(0)
	global_store_dword v[3:4], v5, off
	v_add_co_u32 v3, s0, 0x400, v3
	v_add_co_ci_u32_e64 v4, null, 0, v4, s0
	s_andn2_b32 exec_lo, exec_lo, s1
	s_cbranch_execnz .LBB23_471
.LBB23_472:
	s_endpgm
.LBB23_473:
	v_add_nc_u32_e32 v6, 1, v3
	v_lshlrev_b32_e32 v7, 2, v3
	v_mov_b32_e32 v3, v6
	ds_write_b32 v7, v19 offset:1024
	s_or_b32 exec_lo, exec_lo, s5
	s_and_saveexec_b32 s5, s4
	s_cbranch_execz .LBB23_444
.LBB23_474:
	v_lshlrev_b32_e32 v6, 2, v3
	v_add_nc_u32_e32 v3, 1, v3
	ds_write_b32 v6, v18 offset:1024
	s_or_b32 exec_lo, exec_lo, s5
	s_and_saveexec_b32 s4, s3
	s_cbranch_execz .LBB23_445
.LBB23_475:
	v_lshlrev_b32_e32 v6, 2, v3
	v_add_nc_u32_e32 v3, 1, v3
	ds_write_b32 v6, v20 offset:1024
	s_or_b32 exec_lo, exec_lo, s4
	s_and_saveexec_b32 s3, s2
	s_cbranch_execz .LBB23_446
.LBB23_476:
	v_lshlrev_b32_e32 v6, 2, v3
	v_add_nc_u32_e32 v3, 1, v3
	ds_write_b32 v6, v21 offset:1024
	s_or_b32 exec_lo, exec_lo, s3
	s_and_saveexec_b32 s2, s1
	s_cbranch_execz .LBB23_447
.LBB23_477:
	v_lshlrev_b32_e32 v6, 2, v3
	v_add_nc_u32_e32 v3, 1, v3
	ds_write_b32 v6, v23 offset:1024
	s_or_b32 exec_lo, exec_lo, s2
	s_and_saveexec_b32 s1, s0
	s_cbranch_execnz .LBB23_448
	s_branch .LBB23_449
	.section	.rodata,"a",@progbits
	.p2align	6, 0x0
	.amdhsa_kernel _ZN6thrust23THRUST_200600_302600_NS11hip_rocprim16__set_operations22lookback_set_op_kernelIN7rocprim17ROCPRIM_400000_NS13kernel_configILj256ELj16ELj4294967295EEELb0ENS0_6detail15normal_iteratorINS0_10device_ptrIKiEEEESD_PiSE_lNS9_INSA_IiEEEESE_NS0_4lessIiEENS2_23serial_set_intersectionENS5_6detail19lookback_scan_stateIlLb0ELb1EEEEEvT1_T2_T3_T4_T6_T7_T8_T9_PNS0_4pairIT5_SW_EEPSW_T10_NSK_16ordered_block_idIjEE
		.amdhsa_group_segment_fixed_size 36868
		.amdhsa_private_segment_fixed_size 0
		.amdhsa_kernarg_size 344
		.amdhsa_user_sgpr_count 6
		.amdhsa_user_sgpr_private_segment_buffer 1
		.amdhsa_user_sgpr_dispatch_ptr 0
		.amdhsa_user_sgpr_queue_ptr 0
		.amdhsa_user_sgpr_kernarg_segment_ptr 1
		.amdhsa_user_sgpr_dispatch_id 0
		.amdhsa_user_sgpr_flat_scratch_init 0
		.amdhsa_user_sgpr_private_segment_size 0
		.amdhsa_wavefront_size32 1
		.amdhsa_uses_dynamic_stack 0
		.amdhsa_system_sgpr_private_segment_wavefront_offset 0
		.amdhsa_system_sgpr_workgroup_id_x 1
		.amdhsa_system_sgpr_workgroup_id_y 0
		.amdhsa_system_sgpr_workgroup_id_z 0
		.amdhsa_system_sgpr_workgroup_info 0
		.amdhsa_system_vgpr_workitem_id 2
		.amdhsa_next_free_vgpr 145
		.amdhsa_next_free_sgpr 44
		.amdhsa_reserve_vcc 1
		.amdhsa_reserve_flat_scratch 0
		.amdhsa_float_round_mode_32 0
		.amdhsa_float_round_mode_16_64 0
		.amdhsa_float_denorm_mode_32 3
		.amdhsa_float_denorm_mode_16_64 3
		.amdhsa_dx10_clamp 1
		.amdhsa_ieee_mode 1
		.amdhsa_fp16_overflow 0
		.amdhsa_workgroup_processor_mode 1
		.amdhsa_memory_ordered 1
		.amdhsa_forward_progress 1
		.amdhsa_shared_vgpr_count 0
		.amdhsa_exception_fp_ieee_invalid_op 0
		.amdhsa_exception_fp_denorm_src 0
		.amdhsa_exception_fp_ieee_div_zero 0
		.amdhsa_exception_fp_ieee_overflow 0
		.amdhsa_exception_fp_ieee_underflow 0
		.amdhsa_exception_fp_ieee_inexact 0
		.amdhsa_exception_int_div_zero 0
	.end_amdhsa_kernel
	.section	.text._ZN6thrust23THRUST_200600_302600_NS11hip_rocprim16__set_operations22lookback_set_op_kernelIN7rocprim17ROCPRIM_400000_NS13kernel_configILj256ELj16ELj4294967295EEELb0ENS0_6detail15normal_iteratorINS0_10device_ptrIKiEEEESD_PiSE_lNS9_INSA_IiEEEESE_NS0_4lessIiEENS2_23serial_set_intersectionENS5_6detail19lookback_scan_stateIlLb0ELb1EEEEEvT1_T2_T3_T4_T6_T7_T8_T9_PNS0_4pairIT5_SW_EEPSW_T10_NSK_16ordered_block_idIjEE,"axG",@progbits,_ZN6thrust23THRUST_200600_302600_NS11hip_rocprim16__set_operations22lookback_set_op_kernelIN7rocprim17ROCPRIM_400000_NS13kernel_configILj256ELj16ELj4294967295EEELb0ENS0_6detail15normal_iteratorINS0_10device_ptrIKiEEEESD_PiSE_lNS9_INSA_IiEEEESE_NS0_4lessIiEENS2_23serial_set_intersectionENS5_6detail19lookback_scan_stateIlLb0ELb1EEEEEvT1_T2_T3_T4_T6_T7_T8_T9_PNS0_4pairIT5_SW_EEPSW_T10_NSK_16ordered_block_idIjEE,comdat
.Lfunc_end23:
	.size	_ZN6thrust23THRUST_200600_302600_NS11hip_rocprim16__set_operations22lookback_set_op_kernelIN7rocprim17ROCPRIM_400000_NS13kernel_configILj256ELj16ELj4294967295EEELb0ENS0_6detail15normal_iteratorINS0_10device_ptrIKiEEEESD_PiSE_lNS9_INSA_IiEEEESE_NS0_4lessIiEENS2_23serial_set_intersectionENS5_6detail19lookback_scan_stateIlLb0ELb1EEEEEvT1_T2_T3_T4_T6_T7_T8_T9_PNS0_4pairIT5_SW_EEPSW_T10_NSK_16ordered_block_idIjEE, .Lfunc_end23-_ZN6thrust23THRUST_200600_302600_NS11hip_rocprim16__set_operations22lookback_set_op_kernelIN7rocprim17ROCPRIM_400000_NS13kernel_configILj256ELj16ELj4294967295EEELb0ENS0_6detail15normal_iteratorINS0_10device_ptrIKiEEEESD_PiSE_lNS9_INSA_IiEEEESE_NS0_4lessIiEENS2_23serial_set_intersectionENS5_6detail19lookback_scan_stateIlLb0ELb1EEEEEvT1_T2_T3_T4_T6_T7_T8_T9_PNS0_4pairIT5_SW_EEPSW_T10_NSK_16ordered_block_idIjEE
                                        ; -- End function
	.set _ZN6thrust23THRUST_200600_302600_NS11hip_rocprim16__set_operations22lookback_set_op_kernelIN7rocprim17ROCPRIM_400000_NS13kernel_configILj256ELj16ELj4294967295EEELb0ENS0_6detail15normal_iteratorINS0_10device_ptrIKiEEEESD_PiSE_lNS9_INSA_IiEEEESE_NS0_4lessIiEENS2_23serial_set_intersectionENS5_6detail19lookback_scan_stateIlLb0ELb1EEEEEvT1_T2_T3_T4_T6_T7_T8_T9_PNS0_4pairIT5_SW_EEPSW_T10_NSK_16ordered_block_idIjEE.num_vgpr, 74
	.set _ZN6thrust23THRUST_200600_302600_NS11hip_rocprim16__set_operations22lookback_set_op_kernelIN7rocprim17ROCPRIM_400000_NS13kernel_configILj256ELj16ELj4294967295EEELb0ENS0_6detail15normal_iteratorINS0_10device_ptrIKiEEEESD_PiSE_lNS9_INSA_IiEEEESE_NS0_4lessIiEENS2_23serial_set_intersectionENS5_6detail19lookback_scan_stateIlLb0ELb1EEEEEvT1_T2_T3_T4_T6_T7_T8_T9_PNS0_4pairIT5_SW_EEPSW_T10_NSK_16ordered_block_idIjEE.num_agpr, 0
	.set _ZN6thrust23THRUST_200600_302600_NS11hip_rocprim16__set_operations22lookback_set_op_kernelIN7rocprim17ROCPRIM_400000_NS13kernel_configILj256ELj16ELj4294967295EEELb0ENS0_6detail15normal_iteratorINS0_10device_ptrIKiEEEESD_PiSE_lNS9_INSA_IiEEEESE_NS0_4lessIiEENS2_23serial_set_intersectionENS5_6detail19lookback_scan_stateIlLb0ELb1EEEEEvT1_T2_T3_T4_T6_T7_T8_T9_PNS0_4pairIT5_SW_EEPSW_T10_NSK_16ordered_block_idIjEE.numbered_sgpr, 44
	.set _ZN6thrust23THRUST_200600_302600_NS11hip_rocprim16__set_operations22lookback_set_op_kernelIN7rocprim17ROCPRIM_400000_NS13kernel_configILj256ELj16ELj4294967295EEELb0ENS0_6detail15normal_iteratorINS0_10device_ptrIKiEEEESD_PiSE_lNS9_INSA_IiEEEESE_NS0_4lessIiEENS2_23serial_set_intersectionENS5_6detail19lookback_scan_stateIlLb0ELb1EEEEEvT1_T2_T3_T4_T6_T7_T8_T9_PNS0_4pairIT5_SW_EEPSW_T10_NSK_16ordered_block_idIjEE.num_named_barrier, 0
	.set _ZN6thrust23THRUST_200600_302600_NS11hip_rocprim16__set_operations22lookback_set_op_kernelIN7rocprim17ROCPRIM_400000_NS13kernel_configILj256ELj16ELj4294967295EEELb0ENS0_6detail15normal_iteratorINS0_10device_ptrIKiEEEESD_PiSE_lNS9_INSA_IiEEEESE_NS0_4lessIiEENS2_23serial_set_intersectionENS5_6detail19lookback_scan_stateIlLb0ELb1EEEEEvT1_T2_T3_T4_T6_T7_T8_T9_PNS0_4pairIT5_SW_EEPSW_T10_NSK_16ordered_block_idIjEE.private_seg_size, 0
	.set _ZN6thrust23THRUST_200600_302600_NS11hip_rocprim16__set_operations22lookback_set_op_kernelIN7rocprim17ROCPRIM_400000_NS13kernel_configILj256ELj16ELj4294967295EEELb0ENS0_6detail15normal_iteratorINS0_10device_ptrIKiEEEESD_PiSE_lNS9_INSA_IiEEEESE_NS0_4lessIiEENS2_23serial_set_intersectionENS5_6detail19lookback_scan_stateIlLb0ELb1EEEEEvT1_T2_T3_T4_T6_T7_T8_T9_PNS0_4pairIT5_SW_EEPSW_T10_NSK_16ordered_block_idIjEE.uses_vcc, 1
	.set _ZN6thrust23THRUST_200600_302600_NS11hip_rocprim16__set_operations22lookback_set_op_kernelIN7rocprim17ROCPRIM_400000_NS13kernel_configILj256ELj16ELj4294967295EEELb0ENS0_6detail15normal_iteratorINS0_10device_ptrIKiEEEESD_PiSE_lNS9_INSA_IiEEEESE_NS0_4lessIiEENS2_23serial_set_intersectionENS5_6detail19lookback_scan_stateIlLb0ELb1EEEEEvT1_T2_T3_T4_T6_T7_T8_T9_PNS0_4pairIT5_SW_EEPSW_T10_NSK_16ordered_block_idIjEE.uses_flat_scratch, 0
	.set _ZN6thrust23THRUST_200600_302600_NS11hip_rocprim16__set_operations22lookback_set_op_kernelIN7rocprim17ROCPRIM_400000_NS13kernel_configILj256ELj16ELj4294967295EEELb0ENS0_6detail15normal_iteratorINS0_10device_ptrIKiEEEESD_PiSE_lNS9_INSA_IiEEEESE_NS0_4lessIiEENS2_23serial_set_intersectionENS5_6detail19lookback_scan_stateIlLb0ELb1EEEEEvT1_T2_T3_T4_T6_T7_T8_T9_PNS0_4pairIT5_SW_EEPSW_T10_NSK_16ordered_block_idIjEE.has_dyn_sized_stack, 0
	.set _ZN6thrust23THRUST_200600_302600_NS11hip_rocprim16__set_operations22lookback_set_op_kernelIN7rocprim17ROCPRIM_400000_NS13kernel_configILj256ELj16ELj4294967295EEELb0ENS0_6detail15normal_iteratorINS0_10device_ptrIKiEEEESD_PiSE_lNS9_INSA_IiEEEESE_NS0_4lessIiEENS2_23serial_set_intersectionENS5_6detail19lookback_scan_stateIlLb0ELb1EEEEEvT1_T2_T3_T4_T6_T7_T8_T9_PNS0_4pairIT5_SW_EEPSW_T10_NSK_16ordered_block_idIjEE.has_recursion, 0
	.set _ZN6thrust23THRUST_200600_302600_NS11hip_rocprim16__set_operations22lookback_set_op_kernelIN7rocprim17ROCPRIM_400000_NS13kernel_configILj256ELj16ELj4294967295EEELb0ENS0_6detail15normal_iteratorINS0_10device_ptrIKiEEEESD_PiSE_lNS9_INSA_IiEEEESE_NS0_4lessIiEENS2_23serial_set_intersectionENS5_6detail19lookback_scan_stateIlLb0ELb1EEEEEvT1_T2_T3_T4_T6_T7_T8_T9_PNS0_4pairIT5_SW_EEPSW_T10_NSK_16ordered_block_idIjEE.has_indirect_call, 0
	.section	.AMDGPU.csdata,"",@progbits
; Kernel info:
; codeLenInByte = 18912
; TotalNumSgprs: 46
; NumVgprs: 74
; ScratchSize: 0
; MemoryBound: 0
; FloatMode: 240
; IeeeMode: 1
; LDSByteSize: 36868 bytes/workgroup (compile time only)
; SGPRBlocks: 0
; VGPRBlocks: 18
; NumSGPRsForWavesPerEU: 46
; NumVGPRsForWavesPerEU: 145
; Occupancy: 6
; WaveLimiterHint : 1
; COMPUTE_PGM_RSRC2:SCRATCH_EN: 0
; COMPUTE_PGM_RSRC2:USER_SGPR: 6
; COMPUTE_PGM_RSRC2:TRAP_HANDLER: 0
; COMPUTE_PGM_RSRC2:TGID_X_EN: 1
; COMPUTE_PGM_RSRC2:TGID_Y_EN: 0
; COMPUTE_PGM_RSRC2:TGID_Z_EN: 0
; COMPUTE_PGM_RSRC2:TIDIG_COMP_CNT: 2
	.section	.text._ZN6thrust23THRUST_200600_302600_NS11hip_rocprim14__parallel_for6kernelILj256EZNS1_16__set_operations9doit_stepILb0ENS0_6detail15normal_iteratorINS0_10device_ptrIKiEEEESB_PiSC_lNS7_INS8_IiEEEESC_NS0_4lessIiEENS4_21serial_set_differenceEEE10hipError_tPvRmT0_T1_T2_T3_T4_SP_T5_T6_PSP_T7_T8_P12ihipStream_tbEUllE_jLj1EEEvSL_SM_SM_,"axG",@progbits,_ZN6thrust23THRUST_200600_302600_NS11hip_rocprim14__parallel_for6kernelILj256EZNS1_16__set_operations9doit_stepILb0ENS0_6detail15normal_iteratorINS0_10device_ptrIKiEEEESB_PiSC_lNS7_INS8_IiEEEESC_NS0_4lessIiEENS4_21serial_set_differenceEEE10hipError_tPvRmT0_T1_T2_T3_T4_SP_T5_T6_PSP_T7_T8_P12ihipStream_tbEUllE_jLj1EEEvSL_SM_SM_,comdat
	.protected	_ZN6thrust23THRUST_200600_302600_NS11hip_rocprim14__parallel_for6kernelILj256EZNS1_16__set_operations9doit_stepILb0ENS0_6detail15normal_iteratorINS0_10device_ptrIKiEEEESB_PiSC_lNS7_INS8_IiEEEESC_NS0_4lessIiEENS4_21serial_set_differenceEEE10hipError_tPvRmT0_T1_T2_T3_T4_SP_T5_T6_PSP_T7_T8_P12ihipStream_tbEUllE_jLj1EEEvSL_SM_SM_ ; -- Begin function _ZN6thrust23THRUST_200600_302600_NS11hip_rocprim14__parallel_for6kernelILj256EZNS1_16__set_operations9doit_stepILb0ENS0_6detail15normal_iteratorINS0_10device_ptrIKiEEEESB_PiSC_lNS7_INS8_IiEEEESC_NS0_4lessIiEENS4_21serial_set_differenceEEE10hipError_tPvRmT0_T1_T2_T3_T4_SP_T5_T6_PSP_T7_T8_P12ihipStream_tbEUllE_jLj1EEEvSL_SM_SM_
	.globl	_ZN6thrust23THRUST_200600_302600_NS11hip_rocprim14__parallel_for6kernelILj256EZNS1_16__set_operations9doit_stepILb0ENS0_6detail15normal_iteratorINS0_10device_ptrIKiEEEESB_PiSC_lNS7_INS8_IiEEEESC_NS0_4lessIiEENS4_21serial_set_differenceEEE10hipError_tPvRmT0_T1_T2_T3_T4_SP_T5_T6_PSP_T7_T8_P12ihipStream_tbEUllE_jLj1EEEvSL_SM_SM_
	.p2align	8
	.type	_ZN6thrust23THRUST_200600_302600_NS11hip_rocprim14__parallel_for6kernelILj256EZNS1_16__set_operations9doit_stepILb0ENS0_6detail15normal_iteratorINS0_10device_ptrIKiEEEESB_PiSC_lNS7_INS8_IiEEEESC_NS0_4lessIiEENS4_21serial_set_differenceEEE10hipError_tPvRmT0_T1_T2_T3_T4_SP_T5_T6_PSP_T7_T8_P12ihipStream_tbEUllE_jLj1EEEvSL_SM_SM_,@function
_ZN6thrust23THRUST_200600_302600_NS11hip_rocprim14__parallel_for6kernelILj256EZNS1_16__set_operations9doit_stepILb0ENS0_6detail15normal_iteratorINS0_10device_ptrIKiEEEESB_PiSC_lNS7_INS8_IiEEEESC_NS0_4lessIiEENS4_21serial_set_differenceEEE10hipError_tPvRmT0_T1_T2_T3_T4_SP_T5_T6_PSP_T7_T8_P12ihipStream_tbEUllE_jLj1EEEvSL_SM_SM_: ; @_ZN6thrust23THRUST_200600_302600_NS11hip_rocprim14__parallel_for6kernelILj256EZNS1_16__set_operations9doit_stepILb0ENS0_6detail15normal_iteratorINS0_10device_ptrIKiEEEESB_PiSC_lNS7_INS8_IiEEEESC_NS0_4lessIiEENS4_21serial_set_differenceEEE10hipError_tPvRmT0_T1_T2_T3_T4_SP_T5_T6_PSP_T7_T8_P12ihipStream_tbEUllE_jLj1EEEvSL_SM_SM_
; %bb.0:
	s_clause 0x2
	s_load_dwordx2 s[0:1], s[4:5], 0x30
	s_load_dwordx2 s[2:3], s[4:5], 0x20
	s_load_dwordx8 s[8:15], s[4:5], 0x0
	s_lshl_b32 s4, s6, 8
	s_waitcnt lgkmcnt(0)
	s_add_i32 s1, s1, s4
	s_sub_i32 s4, s0, s1
	s_mov_b32 s0, -1
	s_cmpk_gt_u32 s4, 0xff
	s_cbranch_scc0 .LBB24_3
; %bb.1:
	s_andn2_b32 vcc_lo, exec_lo, s0
	s_cbranch_vccz .LBB24_40
.LBB24_2:
	s_endpgm
.LBB24_3:
	v_cmp_gt_u32_e32 vcc_lo, s4, v0
	s_and_saveexec_b32 s4, vcc_lo
	s_cbranch_execz .LBB24_39
; %bb.4:
	v_add_nc_u32_e32 v3, s1, v0
	s_add_u32 s6, s10, s8
	s_addc_u32 s7, s11, s9
	v_mov_b32_e32 v4, 0
	s_mov_b32 s5, 0
	v_mad_u64_u32 v[1:2], null, 0xfff, v3, 0
	v_cmp_lt_i64_e32 vcc_lo, s[6:7], v[1:2]
	v_cndmask_b32_e64 v5, v1, s6, vcc_lo
	v_cndmask_b32_e64 v6, v2, s7, vcc_lo
	v_sub_co_u32 v1, vcc_lo, v5, s10
	v_subrev_co_ci_u32_e64 v2, null, s11, v6, vcc_lo
	v_cmp_lt_i64_e64 s0, s[8:9], v[5:6]
	v_cmp_lt_i64_e32 vcc_lo, 0, v[1:2]
	v_cndmask_b32_e64 v8, v6, s9, s0
	v_cndmask_b32_e64 v7, v5, s8, s0
	s_mov_b32 s0, exec_lo
	v_cndmask_b32_e32 v2, 0, v2, vcc_lo
	v_cndmask_b32_e32 v1, 0, v1, vcc_lo
	v_cmpx_lt_i64_e64 v[1:2], v[7:8]
	s_cbranch_execz .LBB24_8
; %bb.5:
	v_lshlrev_b64 v[9:10], 2, v[5:6]
	v_add_co_u32 v9, vcc_lo, s2, v9
	v_add_co_ci_u32_e64 v10, null, s3, v10, vcc_lo
	s_inst_prefetch 0x1
	.p2align	6
.LBB24_6:                               ; =>This Inner Loop Header: Depth=1
	v_add_co_u32 v11, vcc_lo, v7, v1
	v_add_co_ci_u32_e64 v12, null, v8, v2, vcc_lo
	v_lshrrev_b64 v[11:12], 1, v[11:12]
	v_lshlrev_b64 v[13:14], 2, v[11:12]
	v_xor_b32_e32 v15, -4, v13
	v_xor_b32_e32 v16, -1, v14
	v_add_co_u32 v13, vcc_lo, s14, v13
	v_add_co_ci_u32_e64 v14, null, s15, v14, vcc_lo
	v_add_co_u32 v15, vcc_lo, v9, v15
	v_add_co_ci_u32_e64 v16, null, v10, v16, vcc_lo
	global_load_dword v13, v[13:14], off
	global_load_dword v14, v[15:16], off
	v_add_co_u32 v15, vcc_lo, v11, 1
	v_add_co_ci_u32_e64 v16, null, 0, v12, vcc_lo
	s_waitcnt vmcnt(0)
	v_cmp_lt_i32_e32 vcc_lo, v14, v13
	v_cndmask_b32_e32 v8, v8, v12, vcc_lo
	v_cndmask_b32_e32 v7, v7, v11, vcc_lo
	;; [unrolled: 1-line block ×4, first 2 shown]
	v_cmp_ge_i64_e32 vcc_lo, v[1:2], v[7:8]
	s_or_b32 s5, vcc_lo, s5
	s_andn2_b32 exec_lo, exec_lo, s5
	s_cbranch_execnz .LBB24_6
; %bb.7:
	s_inst_prefetch 0x2
	s_or_b32 exec_lo, exec_lo, s5
.LBB24_8:
	s_or_b32 exec_lo, exec_lo, s0
	v_sub_co_u32 v11, vcc_lo, v5, v1
	v_mov_b32_e32 v9, 0
	v_sub_co_ci_u32_e64 v12, null, v6, v2, vcc_lo
	v_mov_b32_e32 v10, 0
	s_mov_b32 s5, exec_lo
	v_cmpx_gt_i64_e64 s[10:11], v[11:12]
	s_cbranch_execz .LBB24_38
; %bb.9:
	v_lshlrev_b64 v[7:8], 2, v[11:12]
	v_mov_b32_e32 v13, 0
	v_mov_b32_e32 v14, 0
	s_mov_b32 s0, exec_lo
	v_add_co_u32 v9, vcc_lo, s2, v7
	v_add_co_ci_u32_e64 v10, null, s3, v8, vcc_lo
	v_mov_b32_e32 v7, 0
	v_mov_b32_e32 v8, 0
	global_load_dword v19, v[9:10], off
	v_cmpx_lt_i64_e32 0, v[1:2]
	s_cbranch_execnz .LBB24_14
; %bb.10:
	s_or_b32 exec_lo, exec_lo, s0
	s_mov_b32 s0, exec_lo
	v_cmpx_lt_u64_e64 v[7:8], v[13:14]
	s_cbranch_execnz .LBB24_15
.LBB24_11:
	s_or_b32 exec_lo, exec_lo, s0
	s_mov_b32 s0, exec_lo
	v_cmpx_lt_u64_e64 v[7:8], v[13:14]
	s_cbranch_execnz .LBB24_16
.LBB24_12:
	s_or_b32 exec_lo, exec_lo, s0
	s_mov_b32 s0, exec_lo
	v_cmpx_lt_u64_e64 v[7:8], v[13:14]
	s_cbranch_execnz .LBB24_17
.LBB24_13:
	s_or_b32 exec_lo, exec_lo, s0
	s_mov_b32 s0, exec_lo
	v_cmpx_lt_u64_e64 v[7:8], v[13:14]
	s_cbranch_execnz .LBB24_18
	s_branch .LBB24_21
.LBB24_14:
	v_mad_u64_u32 v[7:8], null, 0x1ff, v1, 0
	v_mad_u64_u32 v[13:14], null, 0x1ff, v2, v[8:9]
	v_mov_b32_e32 v8, v13
	v_lshrrev_b64 v[13:14], 9, v[7:8]
	v_lshlrev_b64 v[7:8], 2, v[13:14]
	v_add_co_u32 v7, vcc_lo, s14, v7
	v_add_co_ci_u32_e64 v8, null, s15, v8, vcc_lo
	v_add_co_u32 v15, vcc_lo, v13, 1
	global_load_dword v7, v[7:8], off
	v_add_co_ci_u32_e64 v8, null, 0, v14, vcc_lo
	s_waitcnt vmcnt(0)
	v_cmp_lt_i32_e32 vcc_lo, v7, v19
	v_cndmask_b32_e32 v8, 0, v8, vcc_lo
	v_cndmask_b32_e32 v7, 0, v15, vcc_lo
	;; [unrolled: 1-line block ×4, first 2 shown]
	s_or_b32 exec_lo, exec_lo, s0
	s_mov_b32 s0, exec_lo
	v_cmpx_lt_u64_e64 v[7:8], v[13:14]
	s_cbranch_execz .LBB24_11
.LBB24_15:
	v_mad_u64_u32 v[15:16], null, 0x7f, v13, v[7:8]
	v_mad_u64_u32 v[16:17], null, 0x7f, v14, v[16:17]
	v_lshrrev_b64 v[15:16], 7, v[15:16]
	v_lshlrev_b64 v[17:18], 2, v[15:16]
	v_add_co_u32 v17, vcc_lo, s14, v17
	v_add_co_ci_u32_e64 v18, null, s15, v18, vcc_lo
	global_load_dword v17, v[17:18], off
	v_add_co_u32 v18, vcc_lo, v15, 1
	v_add_co_ci_u32_e64 v20, null, 0, v16, vcc_lo
	s_waitcnt vmcnt(0)
	v_cmp_lt_i32_e32 vcc_lo, v17, v19
	v_cndmask_b32_e32 v8, v8, v20, vcc_lo
	v_cndmask_b32_e32 v7, v7, v18, vcc_lo
	;; [unrolled: 1-line block ×4, first 2 shown]
	s_or_b32 exec_lo, exec_lo, s0
	s_mov_b32 s0, exec_lo
	v_cmpx_lt_u64_e64 v[7:8], v[13:14]
	s_cbranch_execz .LBB24_12
.LBB24_16:
	v_mad_u64_u32 v[15:16], null, v13, 31, v[7:8]
	v_mad_u64_u32 v[16:17], null, v14, 31, v[16:17]
	v_lshrrev_b64 v[15:16], 5, v[15:16]
	v_lshlrev_b64 v[17:18], 2, v[15:16]
	v_add_co_u32 v17, vcc_lo, s14, v17
	v_add_co_ci_u32_e64 v18, null, s15, v18, vcc_lo
	global_load_dword v17, v[17:18], off
	v_add_co_u32 v18, vcc_lo, v15, 1
	v_add_co_ci_u32_e64 v20, null, 0, v16, vcc_lo
	s_waitcnt vmcnt(0)
	v_cmp_lt_i32_e32 vcc_lo, v17, v19
	v_cndmask_b32_e32 v8, v8, v20, vcc_lo
	v_cndmask_b32_e32 v7, v7, v18, vcc_lo
	;; [unrolled: 1-line block ×4, first 2 shown]
	s_or_b32 exec_lo, exec_lo, s0
	s_mov_b32 s0, exec_lo
	v_cmpx_lt_u64_e64 v[7:8], v[13:14]
	s_cbranch_execz .LBB24_13
.LBB24_17:
	v_mad_u64_u32 v[15:16], null, v13, 15, v[7:8]
	v_mad_u64_u32 v[16:17], null, v14, 15, v[16:17]
	v_lshrrev_b64 v[15:16], 4, v[15:16]
	v_lshlrev_b64 v[17:18], 2, v[15:16]
	v_add_co_u32 v17, vcc_lo, s14, v17
	v_add_co_ci_u32_e64 v18, null, s15, v18, vcc_lo
	global_load_dword v17, v[17:18], off
	v_add_co_u32 v18, vcc_lo, v15, 1
	v_add_co_ci_u32_e64 v20, null, 0, v16, vcc_lo
	s_waitcnt vmcnt(0)
	v_cmp_lt_i32_e32 vcc_lo, v17, v19
	v_cndmask_b32_e32 v8, v8, v20, vcc_lo
	v_cndmask_b32_e32 v7, v7, v18, vcc_lo
	;; [unrolled: 1-line block ×4, first 2 shown]
	s_or_b32 exec_lo, exec_lo, s0
	s_mov_b32 s0, exec_lo
	v_cmpx_lt_u64_e64 v[7:8], v[13:14]
	s_cbranch_execz .LBB24_21
.LBB24_18:
	s_mov_b32 s6, 0
	.p2align	6
.LBB24_19:                              ; =>This Inner Loop Header: Depth=1
	v_add_co_u32 v15, vcc_lo, v7, v13
	v_add_co_ci_u32_e64 v16, null, v8, v14, vcc_lo
	v_lshrrev_b64 v[15:16], 1, v[15:16]
	v_lshlrev_b64 v[17:18], 2, v[15:16]
	v_add_co_u32 v17, vcc_lo, s14, v17
	v_add_co_ci_u32_e64 v18, null, s15, v18, vcc_lo
	global_load_dword v17, v[17:18], off
	v_add_co_u32 v18, vcc_lo, v15, 1
	v_add_co_ci_u32_e64 v20, null, 0, v16, vcc_lo
	s_waitcnt vmcnt(0)
	v_cmp_lt_i32_e32 vcc_lo, v17, v19
	v_cndmask_b32_e32 v8, v8, v20, vcc_lo
	v_cndmask_b32_e32 v7, v7, v18, vcc_lo
	v_cndmask_b32_e32 v14, v16, v14, vcc_lo
	v_cndmask_b32_e32 v13, v15, v13, vcc_lo
	v_cmp_ge_i64_e32 vcc_lo, v[7:8], v[13:14]
	s_or_b32 s6, vcc_lo, s6
	s_andn2_b32 exec_lo, exec_lo, s6
	s_cbranch_execnz .LBB24_19
; %bb.20:
	s_or_b32 exec_lo, exec_lo, s6
.LBB24_21:
	s_or_b32 exec_lo, exec_lo, s0
	v_mov_b32_e32 v13, 0
	v_mov_b32_e32 v16, v12
	;; [unrolled: 1-line block ×4, first 2 shown]
	s_mov_b32 s0, exec_lo
	v_cmpx_lt_i64_e32 0, v[11:12]
	s_cbranch_execnz .LBB24_26
; %bb.22:
	s_or_b32 exec_lo, exec_lo, s0
	s_mov_b32 s0, exec_lo
	v_cmpx_lt_i64_e64 v[13:14], v[15:16]
	s_cbranch_execnz .LBB24_27
.LBB24_23:
	s_or_b32 exec_lo, exec_lo, s0
	s_mov_b32 s0, exec_lo
	v_cmpx_lt_i64_e64 v[13:14], v[15:16]
	s_cbranch_execnz .LBB24_28
.LBB24_24:
	s_or_b32 exec_lo, exec_lo, s0
	s_mov_b32 s0, exec_lo
	v_cmpx_lt_i64_e64 v[13:14], v[15:16]
	s_cbranch_execnz .LBB24_29
.LBB24_25:
	s_or_b32 exec_lo, exec_lo, s0
	s_mov_b32 s0, exec_lo
	v_cmpx_lt_i64_e64 v[13:14], v[15:16]
	s_cbranch_execnz .LBB24_30
	s_branch .LBB24_33
.LBB24_26:
	v_mad_u64_u32 v[13:14], null, 0x1ff, v11, 0
	v_mad_u64_u32 v[14:15], null, 0x1ff, v12, v[14:15]
	v_lshrrev_b64 v[15:16], 9, v[13:14]
	v_lshlrev_b64 v[13:14], 2, v[15:16]
	v_add_co_u32 v13, vcc_lo, s2, v13
	v_add_co_ci_u32_e64 v14, null, s3, v14, vcc_lo
	v_add_co_u32 v17, vcc_lo, v15, 1
	global_load_dword v13, v[13:14], off
	v_add_co_ci_u32_e64 v14, null, 0, v16, vcc_lo
	s_waitcnt vmcnt(0)
	v_cmp_lt_i32_e32 vcc_lo, v13, v19
	v_cndmask_b32_e32 v14, 0, v14, vcc_lo
	v_cndmask_b32_e32 v13, 0, v17, vcc_lo
	v_cndmask_b32_e32 v16, v16, v12, vcc_lo
	v_cndmask_b32_e32 v15, v15, v11, vcc_lo
	s_or_b32 exec_lo, exec_lo, s0
	s_mov_b32 s0, exec_lo
	v_cmpx_lt_i64_e64 v[13:14], v[15:16]
	s_cbranch_execz .LBB24_23
.LBB24_27:
	v_mad_u64_u32 v[17:18], null, 0x7f, v15, v[13:14]
	s_waitcnt vmcnt(0)
	v_mad_u64_u32 v[20:21], null, 0x7f, v16, v[18:19]
	v_mov_b32_e32 v18, v20
	v_lshrrev_b64 v[17:18], 7, v[17:18]
	v_lshlrev_b64 v[20:21], 2, v[17:18]
	v_add_co_u32 v20, vcc_lo, s2, v20
	v_add_co_ci_u32_e64 v21, null, s3, v21, vcc_lo
	global_load_dword v20, v[20:21], off
	v_add_co_u32 v21, vcc_lo, v17, 1
	v_add_co_ci_u32_e64 v22, null, 0, v18, vcc_lo
	s_waitcnt vmcnt(0)
	v_cmp_lt_i32_e32 vcc_lo, v20, v19
	v_cndmask_b32_e32 v14, v14, v22, vcc_lo
	v_cndmask_b32_e32 v13, v13, v21, vcc_lo
	;; [unrolled: 1-line block ×4, first 2 shown]
	s_or_b32 exec_lo, exec_lo, s0
	s_mov_b32 s0, exec_lo
	v_cmpx_lt_i64_e64 v[13:14], v[15:16]
	s_cbranch_execz .LBB24_24
.LBB24_28:
	v_mad_u64_u32 v[17:18], null, v15, 31, v[13:14]
	s_waitcnt vmcnt(0)
	v_mad_u64_u32 v[20:21], null, v16, 31, v[18:19]
	v_mov_b32_e32 v18, v20
	v_lshrrev_b64 v[17:18], 5, v[17:18]
	v_lshlrev_b64 v[20:21], 2, v[17:18]
	v_add_co_u32 v20, vcc_lo, s2, v20
	v_add_co_ci_u32_e64 v21, null, s3, v21, vcc_lo
	global_load_dword v20, v[20:21], off
	v_add_co_u32 v21, vcc_lo, v17, 1
	v_add_co_ci_u32_e64 v22, null, 0, v18, vcc_lo
	s_waitcnt vmcnt(0)
	v_cmp_lt_i32_e32 vcc_lo, v20, v19
	v_cndmask_b32_e32 v14, v14, v22, vcc_lo
	v_cndmask_b32_e32 v13, v13, v21, vcc_lo
	v_cndmask_b32_e32 v16, v18, v16, vcc_lo
	v_cndmask_b32_e32 v15, v17, v15, vcc_lo
	s_or_b32 exec_lo, exec_lo, s0
	s_mov_b32 s0, exec_lo
	v_cmpx_lt_i64_e64 v[13:14], v[15:16]
	s_cbranch_execz .LBB24_25
.LBB24_29:
	v_mad_u64_u32 v[17:18], null, v15, 15, v[13:14]
	s_waitcnt vmcnt(0)
	v_mad_u64_u32 v[20:21], null, v16, 15, v[18:19]
	v_mov_b32_e32 v18, v20
	v_lshrrev_b64 v[17:18], 4, v[17:18]
	v_lshlrev_b64 v[20:21], 2, v[17:18]
	v_add_co_u32 v20, vcc_lo, s2, v20
	v_add_co_ci_u32_e64 v21, null, s3, v21, vcc_lo
	global_load_dword v20, v[20:21], off
	v_add_co_u32 v21, vcc_lo, v17, 1
	v_add_co_ci_u32_e64 v22, null, 0, v18, vcc_lo
	s_waitcnt vmcnt(0)
	v_cmp_lt_i32_e32 vcc_lo, v20, v19
	v_cndmask_b32_e32 v14, v14, v22, vcc_lo
	v_cndmask_b32_e32 v13, v13, v21, vcc_lo
	;; [unrolled: 1-line block ×4, first 2 shown]
	s_or_b32 exec_lo, exec_lo, s0
	s_mov_b32 s0, exec_lo
	v_cmpx_lt_i64_e64 v[13:14], v[15:16]
	s_cbranch_execz .LBB24_33
.LBB24_30:
	s_mov_b32 s6, 0
	.p2align	6
.LBB24_31:                              ; =>This Inner Loop Header: Depth=1
	v_add_co_u32 v17, vcc_lo, v13, v15
	v_add_co_ci_u32_e64 v18, null, v14, v16, vcc_lo
	v_lshrrev_b64 v[17:18], 1, v[17:18]
	v_lshlrev_b64 v[20:21], 2, v[17:18]
	v_add_co_u32 v20, vcc_lo, s2, v20
	v_add_co_ci_u32_e64 v21, null, s3, v21, vcc_lo
	global_load_dword v20, v[20:21], off
	v_add_co_u32 v21, vcc_lo, v17, 1
	v_add_co_ci_u32_e64 v22, null, 0, v18, vcc_lo
	s_waitcnt vmcnt(0)
	v_cmp_lt_i32_e32 vcc_lo, v20, v19
	v_cndmask_b32_e32 v14, v14, v22, vcc_lo
	v_cndmask_b32_e32 v13, v13, v21, vcc_lo
	;; [unrolled: 1-line block ×4, first 2 shown]
	v_cmp_ge_i64_e32 vcc_lo, v[13:14], v[15:16]
	s_or_b32 s6, vcc_lo, s6
	s_andn2_b32 exec_lo, exec_lo, s6
	s_cbranch_execnz .LBB24_31
; %bb.32:
	s_or_b32 exec_lo, exec_lo, s6
.LBB24_33:
	s_or_b32 exec_lo, exec_lo, s0
	v_sub_co_u32 v1, vcc_lo, v1, v7
	v_sub_co_ci_u32_e64 v2, null, v2, v8, vcc_lo
	v_sub_co_u32 v17, vcc_lo, v11, v13
	v_sub_co_ci_u32_e64 v18, null, v12, v14, vcc_lo
	s_mov_b32 s0, exec_lo
	v_add_co_u32 v15, vcc_lo, v17, v1
	v_add_co_ci_u32_e64 v16, null, v18, v2, vcc_lo
	v_ashrrev_i64 v[1:2], 1, v[15:16]
	v_cmp_gt_i64_e32 vcc_lo, v[1:2], v[17:18]
	v_cndmask_b32_e32 v1, v17, v1, vcc_lo
	v_cndmask_b32_e32 v2, v18, v2, vcc_lo
	v_add_co_u32 v13, vcc_lo, v13, v1
	v_add_co_ci_u32_e64 v14, null, v14, v2, vcc_lo
	v_add_co_u32 v13, vcc_lo, v13, 1
	v_add_co_ci_u32_e64 v14, null, 0, v14, vcc_lo
	v_cmp_gt_i64_e32 vcc_lo, s[10:11], v[13:14]
	v_cndmask_b32_e32 v13, s10, v13, vcc_lo
	v_cndmask_b32_e32 v14, s11, v14, vcc_lo
	v_sub_co_u32 v13, vcc_lo, v13, v11
	v_sub_co_ci_u32_e64 v14, null, v14, v12, vcc_lo
	v_mov_b32_e32 v11, 0
	v_mov_b32_e32 v12, 0
	v_cmpx_lt_i64_e32 0, v[13:14]
	s_cbranch_execz .LBB24_37
; %bb.34:
	v_mov_b32_e32 v11, 0
	v_mov_b32_e32 v12, 0
	s_mov_b32 s6, 0
	.p2align	6
.LBB24_35:                              ; =>This Inner Loop Header: Depth=1
	v_add_co_u32 v20, vcc_lo, v11, v13
	v_add_co_ci_u32_e64 v21, null, v12, v14, vcc_lo
	v_lshrrev_b64 v[20:21], 1, v[20:21]
	v_lshlrev_b64 v[22:23], 2, v[20:21]
	v_add_co_u32 v22, vcc_lo, v9, v22
	v_add_co_ci_u32_e64 v23, null, v10, v23, vcc_lo
	global_load_dword v22, v[22:23], off
	v_add_co_u32 v23, vcc_lo, v20, 1
	v_add_co_ci_u32_e64 v24, null, 0, v21, vcc_lo
	s_waitcnt vmcnt(0)
	v_cmp_lt_i32_e32 vcc_lo, v19, v22
	v_cndmask_b32_e32 v12, v24, v12, vcc_lo
	v_cndmask_b32_e32 v11, v23, v11, vcc_lo
	;; [unrolled: 1-line block ×4, first 2 shown]
	v_cmp_ge_i64_e32 vcc_lo, v[11:12], v[13:14]
	s_or_b32 s6, vcc_lo, s6
	s_andn2_b32 exec_lo, exec_lo, s6
	s_cbranch_execnz .LBB24_35
; %bb.36:
	s_or_b32 exec_lo, exec_lo, s6
	v_ashrrev_i32_e32 v12, 31, v11
.LBB24_37:
	s_or_b32 exec_lo, exec_lo, s0
	v_add_co_u32 v9, vcc_lo, v11, v17
	v_add_co_ci_u32_e64 v10, null, v12, v18, vcc_lo
	s_mov_b32 s6, 0
	v_cmp_lt_i64_e32 vcc_lo, v[9:10], v[1:2]
	v_cndmask_b32_e32 v13, v1, v9, vcc_lo
	v_cndmask_b32_e32 v14, v2, v10, vcc_lo
	v_sub_co_u32 v11, vcc_lo, v15, v13
	v_sub_co_ci_u32_e64 v12, null, v16, v14, vcc_lo
	v_add_co_u32 v13, vcc_lo, v13, 1
	v_add_co_ci_u32_e64 v14, null, 0, v14, vcc_lo
	v_cmp_lt_i64_e32 vcc_lo, v[1:2], v[9:10]
	v_mov_b32_e32 v10, s6
	v_cmp_eq_u64_e64 s0, v[11:12], v[13:14]
	s_and_b32 s0, s0, vcc_lo
	v_add_co_u32 v1, vcc_lo, v11, v7
	v_cndmask_b32_e64 v9, 0, 1, s0
	v_add_co_ci_u32_e64 v2, null, v12, v8, vcc_lo
.LBB24_38:
	s_or_b32 exec_lo, exec_lo, s5
	v_lshlrev_b64 v[3:4], 4, v[3:4]
	v_add_co_u32 v7, vcc_lo, v9, v5
	v_add_co_ci_u32_e64 v8, null, v10, v6, vcc_lo
	v_add_co_u32 v5, vcc_lo, s12, v3
	v_add_co_ci_u32_e64 v6, null, s13, v4, vcc_lo
	v_sub_co_u32 v3, vcc_lo, v7, v1
	v_sub_co_ci_u32_e64 v4, null, v8, v2, vcc_lo
	global_store_dwordx4 v[5:6], v[1:4], off
.LBB24_39:
	s_or_b32 exec_lo, exec_lo, s4
	s_cbranch_execnz .LBB24_2
.LBB24_40:
	v_add_nc_u32_e32 v2, s1, v0
	s_add_u32 s0, s10, s8
	s_addc_u32 s1, s11, s9
	v_mov_b32_e32 v3, 0
	v_mad_u64_u32 v[0:1], null, 0xfff, v2, 0
	v_cmp_lt_i64_e32 vcc_lo, s[0:1], v[0:1]
	v_cndmask_b32_e64 v4, v0, s0, vcc_lo
	v_cndmask_b32_e64 v5, v1, s1, vcc_lo
	s_mov_b32 s1, 0
	v_sub_co_u32 v0, vcc_lo, v4, s10
	v_subrev_co_ci_u32_e64 v1, null, s11, v5, vcc_lo
	v_cmp_lt_i64_e64 s0, s[8:9], v[4:5]
	v_cmp_lt_i64_e32 vcc_lo, 0, v[0:1]
	v_cndmask_b32_e64 v7, v5, s9, s0
	v_cndmask_b32_e64 v6, v4, s8, s0
	s_mov_b32 s0, exec_lo
	v_cndmask_b32_e32 v1, 0, v1, vcc_lo
	v_cndmask_b32_e32 v0, 0, v0, vcc_lo
	v_cmpx_lt_i64_e64 v[0:1], v[6:7]
	s_cbranch_execz .LBB24_44
; %bb.41:
	v_lshlrev_b64 v[8:9], 2, v[4:5]
	v_add_co_u32 v8, vcc_lo, s2, v8
	v_add_co_ci_u32_e64 v9, null, s3, v9, vcc_lo
	s_inst_prefetch 0x1
	.p2align	6
.LBB24_42:                              ; =>This Inner Loop Header: Depth=1
	v_add_co_u32 v10, vcc_lo, v6, v0
	v_add_co_ci_u32_e64 v11, null, v7, v1, vcc_lo
	v_lshrrev_b64 v[10:11], 1, v[10:11]
	v_lshlrev_b64 v[12:13], 2, v[10:11]
	v_xor_b32_e32 v14, -4, v12
	v_xor_b32_e32 v15, -1, v13
	v_add_co_u32 v12, vcc_lo, s14, v12
	v_add_co_ci_u32_e64 v13, null, s15, v13, vcc_lo
	v_add_co_u32 v14, vcc_lo, v8, v14
	v_add_co_ci_u32_e64 v15, null, v9, v15, vcc_lo
	global_load_dword v12, v[12:13], off
	global_load_dword v13, v[14:15], off
	v_add_co_u32 v14, vcc_lo, v10, 1
	v_add_co_ci_u32_e64 v15, null, 0, v11, vcc_lo
	s_waitcnt vmcnt(0)
	v_cmp_lt_i32_e32 vcc_lo, v13, v12
	v_cndmask_b32_e32 v7, v7, v11, vcc_lo
	v_cndmask_b32_e32 v6, v6, v10, vcc_lo
	;; [unrolled: 1-line block ×4, first 2 shown]
	v_cmp_ge_i64_e32 vcc_lo, v[0:1], v[6:7]
	s_or_b32 s1, vcc_lo, s1
	s_andn2_b32 exec_lo, exec_lo, s1
	s_cbranch_execnz .LBB24_42
; %bb.43:
	s_inst_prefetch 0x2
	s_or_b32 exec_lo, exec_lo, s1
.LBB24_44:
	s_or_b32 exec_lo, exec_lo, s0
	v_sub_co_u32 v10, vcc_lo, v4, v0
	v_mov_b32_e32 v8, 0
	v_sub_co_ci_u32_e64 v11, null, v5, v1, vcc_lo
	v_mov_b32_e32 v9, 0
	s_mov_b32 s1, exec_lo
	v_cmpx_gt_i64_e64 s[10:11], v[10:11]
	s_cbranch_execz .LBB24_74
; %bb.45:
	v_lshlrev_b64 v[6:7], 2, v[10:11]
	v_mov_b32_e32 v12, 0
	v_mov_b32_e32 v13, 0
	s_mov_b32 s0, exec_lo
	v_add_co_u32 v8, vcc_lo, s2, v6
	v_add_co_ci_u32_e64 v9, null, s3, v7, vcc_lo
	v_mov_b32_e32 v6, 0
	v_mov_b32_e32 v7, 0
	global_load_dword v18, v[8:9], off
	v_cmpx_lt_i64_e32 0, v[0:1]
	s_cbranch_execnz .LBB24_50
; %bb.46:
	s_or_b32 exec_lo, exec_lo, s0
	s_mov_b32 s0, exec_lo
	v_cmpx_lt_u64_e64 v[6:7], v[12:13]
	s_cbranch_execnz .LBB24_51
.LBB24_47:
	s_or_b32 exec_lo, exec_lo, s0
	s_mov_b32 s0, exec_lo
	v_cmpx_lt_u64_e64 v[6:7], v[12:13]
	s_cbranch_execnz .LBB24_52
.LBB24_48:
	s_or_b32 exec_lo, exec_lo, s0
	s_mov_b32 s0, exec_lo
	v_cmpx_lt_u64_e64 v[6:7], v[12:13]
	s_cbranch_execnz .LBB24_53
.LBB24_49:
	s_or_b32 exec_lo, exec_lo, s0
	s_mov_b32 s0, exec_lo
	v_cmpx_lt_u64_e64 v[6:7], v[12:13]
	s_cbranch_execnz .LBB24_54
	s_branch .LBB24_57
.LBB24_50:
	v_mad_u64_u32 v[6:7], null, 0x1ff, v0, 0
	v_mad_u64_u32 v[12:13], null, 0x1ff, v1, v[7:8]
	v_mov_b32_e32 v7, v12
	v_lshrrev_b64 v[12:13], 9, v[6:7]
	v_lshlrev_b64 v[6:7], 2, v[12:13]
	v_add_co_u32 v6, vcc_lo, s14, v6
	v_add_co_ci_u32_e64 v7, null, s15, v7, vcc_lo
	v_add_co_u32 v14, vcc_lo, v12, 1
	global_load_dword v6, v[6:7], off
	v_add_co_ci_u32_e64 v7, null, 0, v13, vcc_lo
	s_waitcnt vmcnt(0)
	v_cmp_lt_i32_e32 vcc_lo, v6, v18
	v_cndmask_b32_e32 v7, 0, v7, vcc_lo
	v_cndmask_b32_e32 v6, 0, v14, vcc_lo
	;; [unrolled: 1-line block ×4, first 2 shown]
	s_or_b32 exec_lo, exec_lo, s0
	s_mov_b32 s0, exec_lo
	v_cmpx_lt_u64_e64 v[6:7], v[12:13]
	s_cbranch_execz .LBB24_47
.LBB24_51:
	v_mad_u64_u32 v[14:15], null, 0x7f, v12, v[6:7]
	v_mad_u64_u32 v[15:16], null, 0x7f, v13, v[15:16]
	v_lshrrev_b64 v[14:15], 7, v[14:15]
	v_lshlrev_b64 v[16:17], 2, v[14:15]
	v_add_co_u32 v16, vcc_lo, s14, v16
	v_add_co_ci_u32_e64 v17, null, s15, v17, vcc_lo
	global_load_dword v16, v[16:17], off
	v_add_co_u32 v17, vcc_lo, v14, 1
	s_waitcnt vmcnt(2)
	v_add_co_ci_u32_e64 v19, null, 0, v15, vcc_lo
	s_waitcnt vmcnt(0)
	v_cmp_lt_i32_e32 vcc_lo, v16, v18
	v_cndmask_b32_e32 v7, v7, v19, vcc_lo
	v_cndmask_b32_e32 v6, v6, v17, vcc_lo
	;; [unrolled: 1-line block ×4, first 2 shown]
	s_or_b32 exec_lo, exec_lo, s0
	s_mov_b32 s0, exec_lo
	v_cmpx_lt_u64_e64 v[6:7], v[12:13]
	s_cbranch_execz .LBB24_48
.LBB24_52:
	v_mad_u64_u32 v[14:15], null, v12, 31, v[6:7]
	v_mad_u64_u32 v[15:16], null, v13, 31, v[15:16]
	v_lshrrev_b64 v[14:15], 5, v[14:15]
	v_lshlrev_b64 v[16:17], 2, v[14:15]
	v_add_co_u32 v16, vcc_lo, s14, v16
	v_add_co_ci_u32_e64 v17, null, s15, v17, vcc_lo
	global_load_dword v16, v[16:17], off
	v_add_co_u32 v17, vcc_lo, v14, 1
	s_waitcnt vmcnt(2)
	v_add_co_ci_u32_e64 v19, null, 0, v15, vcc_lo
	s_waitcnt vmcnt(0)
	v_cmp_lt_i32_e32 vcc_lo, v16, v18
	v_cndmask_b32_e32 v7, v7, v19, vcc_lo
	v_cndmask_b32_e32 v6, v6, v17, vcc_lo
	;; [unrolled: 1-line block ×4, first 2 shown]
	s_or_b32 exec_lo, exec_lo, s0
	s_mov_b32 s0, exec_lo
	v_cmpx_lt_u64_e64 v[6:7], v[12:13]
	s_cbranch_execz .LBB24_49
.LBB24_53:
	v_mad_u64_u32 v[14:15], null, v12, 15, v[6:7]
	v_mad_u64_u32 v[15:16], null, v13, 15, v[15:16]
	v_lshrrev_b64 v[14:15], 4, v[14:15]
	v_lshlrev_b64 v[16:17], 2, v[14:15]
	v_add_co_u32 v16, vcc_lo, s14, v16
	v_add_co_ci_u32_e64 v17, null, s15, v17, vcc_lo
	global_load_dword v16, v[16:17], off
	v_add_co_u32 v17, vcc_lo, v14, 1
	s_waitcnt vmcnt(2)
	v_add_co_ci_u32_e64 v19, null, 0, v15, vcc_lo
	s_waitcnt vmcnt(0)
	v_cmp_lt_i32_e32 vcc_lo, v16, v18
	v_cndmask_b32_e32 v7, v7, v19, vcc_lo
	v_cndmask_b32_e32 v6, v6, v17, vcc_lo
	;; [unrolled: 1-line block ×4, first 2 shown]
	s_or_b32 exec_lo, exec_lo, s0
	s_mov_b32 s0, exec_lo
	v_cmpx_lt_u64_e64 v[6:7], v[12:13]
	s_cbranch_execz .LBB24_57
.LBB24_54:
	s_mov_b32 s4, 0
	.p2align	6
.LBB24_55:                              ; =>This Inner Loop Header: Depth=1
	v_add_co_u32 v14, vcc_lo, v6, v12
	v_add_co_ci_u32_e64 v15, null, v7, v13, vcc_lo
	v_lshrrev_b64 v[14:15], 1, v[14:15]
	v_lshlrev_b64 v[16:17], 2, v[14:15]
	v_add_co_u32 v16, vcc_lo, s14, v16
	v_add_co_ci_u32_e64 v17, null, s15, v17, vcc_lo
	global_load_dword v16, v[16:17], off
	v_add_co_u32 v17, vcc_lo, v14, 1
	s_waitcnt vmcnt(2)
	v_add_co_ci_u32_e64 v19, null, 0, v15, vcc_lo
	s_waitcnt vmcnt(0)
	v_cmp_lt_i32_e32 vcc_lo, v16, v18
	v_cndmask_b32_e32 v7, v7, v19, vcc_lo
	v_cndmask_b32_e32 v6, v6, v17, vcc_lo
	;; [unrolled: 1-line block ×4, first 2 shown]
	v_cmp_ge_i64_e32 vcc_lo, v[6:7], v[12:13]
	s_or_b32 s4, vcc_lo, s4
	s_andn2_b32 exec_lo, exec_lo, s4
	s_cbranch_execnz .LBB24_55
; %bb.56:
	s_or_b32 exec_lo, exec_lo, s4
.LBB24_57:
	s_or_b32 exec_lo, exec_lo, s0
	v_mov_b32_e32 v12, 0
	v_mov_b32_e32 v15, v11
	v_mov_b32_e32 v13, 0
	v_mov_b32_e32 v14, v10
	s_mov_b32 s0, exec_lo
	v_cmpx_lt_i64_e32 0, v[10:11]
	s_cbranch_execnz .LBB24_62
; %bb.58:
	s_or_b32 exec_lo, exec_lo, s0
	s_mov_b32 s0, exec_lo
	v_cmpx_lt_i64_e64 v[12:13], v[14:15]
	s_cbranch_execnz .LBB24_63
.LBB24_59:
	s_or_b32 exec_lo, exec_lo, s0
	s_mov_b32 s0, exec_lo
	v_cmpx_lt_i64_e64 v[12:13], v[14:15]
	s_cbranch_execnz .LBB24_64
.LBB24_60:
	s_or_b32 exec_lo, exec_lo, s0
	s_mov_b32 s0, exec_lo
	v_cmpx_lt_i64_e64 v[12:13], v[14:15]
	s_cbranch_execnz .LBB24_65
.LBB24_61:
	s_or_b32 exec_lo, exec_lo, s0
	s_mov_b32 s0, exec_lo
	v_cmpx_lt_i64_e64 v[12:13], v[14:15]
	s_cbranch_execnz .LBB24_66
	s_branch .LBB24_69
.LBB24_62:
	v_mad_u64_u32 v[12:13], null, 0x1ff, v10, 0
	v_mad_u64_u32 v[13:14], null, 0x1ff, v11, v[13:14]
	v_lshrrev_b64 v[14:15], 9, v[12:13]
	v_lshlrev_b64 v[12:13], 2, v[14:15]
	v_add_co_u32 v12, vcc_lo, s2, v12
	v_add_co_ci_u32_e64 v13, null, s3, v13, vcc_lo
	v_add_co_u32 v16, vcc_lo, v14, 1
	global_load_dword v12, v[12:13], off
	v_add_co_ci_u32_e64 v13, null, 0, v15, vcc_lo
	s_waitcnt vmcnt(0)
	v_cmp_lt_i32_e32 vcc_lo, v12, v18
	v_cndmask_b32_e32 v13, 0, v13, vcc_lo
	v_cndmask_b32_e32 v12, 0, v16, vcc_lo
	;; [unrolled: 1-line block ×4, first 2 shown]
	s_or_b32 exec_lo, exec_lo, s0
	s_mov_b32 s0, exec_lo
	v_cmpx_lt_i64_e64 v[12:13], v[14:15]
	s_cbranch_execz .LBB24_59
.LBB24_63:
	v_mad_u64_u32 v[16:17], null, 0x7f, v14, v[12:13]
	s_waitcnt vmcnt(0)
	v_mad_u64_u32 v[19:20], null, 0x7f, v15, v[17:18]
	v_mov_b32_e32 v17, v19
	v_lshrrev_b64 v[16:17], 7, v[16:17]
	v_lshlrev_b64 v[19:20], 2, v[16:17]
	v_add_co_u32 v19, vcc_lo, s2, v19
	v_add_co_ci_u32_e64 v20, null, s3, v20, vcc_lo
	global_load_dword v19, v[19:20], off
	v_add_co_u32 v20, vcc_lo, v16, 1
	v_add_co_ci_u32_e64 v21, null, 0, v17, vcc_lo
	s_waitcnt vmcnt(0)
	v_cmp_lt_i32_e32 vcc_lo, v19, v18
	v_cndmask_b32_e32 v13, v13, v21, vcc_lo
	v_cndmask_b32_e32 v12, v12, v20, vcc_lo
	;; [unrolled: 1-line block ×4, first 2 shown]
	s_or_b32 exec_lo, exec_lo, s0
	s_mov_b32 s0, exec_lo
	v_cmpx_lt_i64_e64 v[12:13], v[14:15]
	s_cbranch_execz .LBB24_60
.LBB24_64:
	v_mad_u64_u32 v[16:17], null, v14, 31, v[12:13]
	s_waitcnt vmcnt(0)
	v_mad_u64_u32 v[19:20], null, v15, 31, v[17:18]
	v_mov_b32_e32 v17, v19
	v_lshrrev_b64 v[16:17], 5, v[16:17]
	v_lshlrev_b64 v[19:20], 2, v[16:17]
	v_add_co_u32 v19, vcc_lo, s2, v19
	v_add_co_ci_u32_e64 v20, null, s3, v20, vcc_lo
	global_load_dword v19, v[19:20], off
	v_add_co_u32 v20, vcc_lo, v16, 1
	v_add_co_ci_u32_e64 v21, null, 0, v17, vcc_lo
	s_waitcnt vmcnt(0)
	v_cmp_lt_i32_e32 vcc_lo, v19, v18
	v_cndmask_b32_e32 v13, v13, v21, vcc_lo
	v_cndmask_b32_e32 v12, v12, v20, vcc_lo
	;; [unrolled: 1-line block ×4, first 2 shown]
	s_or_b32 exec_lo, exec_lo, s0
	s_mov_b32 s0, exec_lo
	v_cmpx_lt_i64_e64 v[12:13], v[14:15]
	s_cbranch_execz .LBB24_61
.LBB24_65:
	v_mad_u64_u32 v[16:17], null, v14, 15, v[12:13]
	s_waitcnt vmcnt(0)
	v_mad_u64_u32 v[19:20], null, v15, 15, v[17:18]
	v_mov_b32_e32 v17, v19
	v_lshrrev_b64 v[16:17], 4, v[16:17]
	v_lshlrev_b64 v[19:20], 2, v[16:17]
	v_add_co_u32 v19, vcc_lo, s2, v19
	v_add_co_ci_u32_e64 v20, null, s3, v20, vcc_lo
	global_load_dword v19, v[19:20], off
	v_add_co_u32 v20, vcc_lo, v16, 1
	v_add_co_ci_u32_e64 v21, null, 0, v17, vcc_lo
	s_waitcnt vmcnt(0)
	v_cmp_lt_i32_e32 vcc_lo, v19, v18
	v_cndmask_b32_e32 v13, v13, v21, vcc_lo
	v_cndmask_b32_e32 v12, v12, v20, vcc_lo
	;; [unrolled: 1-line block ×4, first 2 shown]
	s_or_b32 exec_lo, exec_lo, s0
	s_mov_b32 s0, exec_lo
	v_cmpx_lt_i64_e64 v[12:13], v[14:15]
	s_cbranch_execz .LBB24_69
.LBB24_66:
	s_mov_b32 s4, 0
	.p2align	6
.LBB24_67:                              ; =>This Inner Loop Header: Depth=1
	v_add_co_u32 v16, vcc_lo, v12, v14
	v_add_co_ci_u32_e64 v17, null, v13, v15, vcc_lo
	v_lshrrev_b64 v[16:17], 1, v[16:17]
	s_waitcnt vmcnt(1)
	v_lshlrev_b64 v[19:20], 2, v[16:17]
	v_add_co_u32 v19, vcc_lo, s2, v19
	v_add_co_ci_u32_e64 v20, null, s3, v20, vcc_lo
	global_load_dword v19, v[19:20], off
	v_add_co_u32 v20, vcc_lo, v16, 1
	v_add_co_ci_u32_e64 v21, null, 0, v17, vcc_lo
	s_waitcnt vmcnt(0)
	v_cmp_lt_i32_e32 vcc_lo, v19, v18
	v_cndmask_b32_e32 v13, v13, v21, vcc_lo
	v_cndmask_b32_e32 v12, v12, v20, vcc_lo
	;; [unrolled: 1-line block ×4, first 2 shown]
	v_cmp_ge_i64_e32 vcc_lo, v[12:13], v[14:15]
	s_or_b32 s4, vcc_lo, s4
	s_andn2_b32 exec_lo, exec_lo, s4
	s_cbranch_execnz .LBB24_67
; %bb.68:
	s_or_b32 exec_lo, exec_lo, s4
.LBB24_69:
	s_or_b32 exec_lo, exec_lo, s0
	v_sub_co_u32 v0, vcc_lo, v0, v6
	v_sub_co_ci_u32_e64 v1, null, v1, v7, vcc_lo
	v_sub_co_u32 v16, vcc_lo, v10, v12
	v_sub_co_ci_u32_e64 v17, null, v11, v13, vcc_lo
	s_mov_b32 s0, exec_lo
	v_add_co_u32 v14, vcc_lo, v16, v0
	v_add_co_ci_u32_e64 v15, null, v17, v1, vcc_lo
	v_ashrrev_i64 v[0:1], 1, v[14:15]
	v_cmp_gt_i64_e32 vcc_lo, v[0:1], v[16:17]
	v_cndmask_b32_e32 v0, v16, v0, vcc_lo
	v_cndmask_b32_e32 v1, v17, v1, vcc_lo
	v_add_co_u32 v12, vcc_lo, v12, v0
	v_add_co_ci_u32_e64 v13, null, v13, v1, vcc_lo
	v_add_co_u32 v12, vcc_lo, v12, 1
	v_add_co_ci_u32_e64 v13, null, 0, v13, vcc_lo
	v_cmp_gt_i64_e32 vcc_lo, s[10:11], v[12:13]
	v_cndmask_b32_e32 v12, s10, v12, vcc_lo
	v_cndmask_b32_e32 v13, s11, v13, vcc_lo
	v_sub_co_u32 v12, vcc_lo, v12, v10
	v_sub_co_ci_u32_e64 v13, null, v13, v11, vcc_lo
	v_mov_b32_e32 v10, 0
	v_mov_b32_e32 v11, 0
	v_cmpx_lt_i64_e32 0, v[12:13]
	s_cbranch_execz .LBB24_73
; %bb.70:
	v_mov_b32_e32 v10, 0
	v_mov_b32_e32 v11, 0
	s_mov_b32 s2, 0
	.p2align	6
.LBB24_71:                              ; =>This Inner Loop Header: Depth=1
	s_waitcnt vmcnt(1)
	v_add_co_u32 v19, vcc_lo, v10, v12
	v_add_co_ci_u32_e64 v20, null, v11, v13, vcc_lo
	v_lshrrev_b64 v[19:20], 1, v[19:20]
	v_lshlrev_b64 v[21:22], 2, v[19:20]
	v_add_co_u32 v21, vcc_lo, v8, v21
	v_add_co_ci_u32_e64 v22, null, v9, v22, vcc_lo
	global_load_dword v21, v[21:22], off
	v_add_co_u32 v22, vcc_lo, v19, 1
	v_add_co_ci_u32_e64 v23, null, 0, v20, vcc_lo
	s_waitcnt vmcnt(0)
	v_cmp_lt_i32_e32 vcc_lo, v18, v21
	v_cndmask_b32_e32 v11, v23, v11, vcc_lo
	v_cndmask_b32_e32 v10, v22, v10, vcc_lo
	;; [unrolled: 1-line block ×4, first 2 shown]
	v_cmp_ge_i64_e32 vcc_lo, v[10:11], v[12:13]
	s_or_b32 s2, vcc_lo, s2
	s_andn2_b32 exec_lo, exec_lo, s2
	s_cbranch_execnz .LBB24_71
; %bb.72:
	s_or_b32 exec_lo, exec_lo, s2
	v_ashrrev_i32_e32 v11, 31, v10
.LBB24_73:
	s_or_b32 exec_lo, exec_lo, s0
	v_add_co_u32 v8, vcc_lo, v10, v16
	v_add_co_ci_u32_e64 v9, null, v11, v17, vcc_lo
	s_mov_b32 s2, 0
	v_cmp_lt_i64_e32 vcc_lo, v[8:9], v[0:1]
	v_cndmask_b32_e32 v12, v0, v8, vcc_lo
	v_cndmask_b32_e32 v13, v1, v9, vcc_lo
	v_sub_co_u32 v10, vcc_lo, v14, v12
	v_sub_co_ci_u32_e64 v11, null, v15, v13, vcc_lo
	v_add_co_u32 v12, vcc_lo, v12, 1
	v_add_co_ci_u32_e64 v13, null, 0, v13, vcc_lo
	v_cmp_lt_i64_e32 vcc_lo, v[0:1], v[8:9]
	v_mov_b32_e32 v9, s2
	v_cmp_eq_u64_e64 s0, v[10:11], v[12:13]
	s_and_b32 s0, s0, vcc_lo
	v_add_co_u32 v0, vcc_lo, v10, v6
	v_cndmask_b32_e64 v8, 0, 1, s0
	v_add_co_ci_u32_e64 v1, null, v11, v7, vcc_lo
.LBB24_74:
	s_or_b32 exec_lo, exec_lo, s1
	v_lshlrev_b64 v[2:3], 4, v[2:3]
	v_add_co_u32 v6, vcc_lo, v8, v4
	v_add_co_ci_u32_e64 v7, null, v9, v5, vcc_lo
	v_add_co_u32 v4, vcc_lo, s12, v2
	v_add_co_ci_u32_e64 v5, null, s13, v3, vcc_lo
	v_sub_co_u32 v2, vcc_lo, v6, v0
	v_sub_co_ci_u32_e64 v3, null, v7, v1, vcc_lo
	global_store_dwordx4 v[4:5], v[0:3], off
	s_endpgm
	.section	.rodata,"a",@progbits
	.p2align	6, 0x0
	.amdhsa_kernel _ZN6thrust23THRUST_200600_302600_NS11hip_rocprim14__parallel_for6kernelILj256EZNS1_16__set_operations9doit_stepILb0ENS0_6detail15normal_iteratorINS0_10device_ptrIKiEEEESB_PiSC_lNS7_INS8_IiEEEESC_NS0_4lessIiEENS4_21serial_set_differenceEEE10hipError_tPvRmT0_T1_T2_T3_T4_SP_T5_T6_PSP_T7_T8_P12ihipStream_tbEUllE_jLj1EEEvSL_SM_SM_
		.amdhsa_group_segment_fixed_size 0
		.amdhsa_private_segment_fixed_size 0
		.amdhsa_kernarg_size 56
		.amdhsa_user_sgpr_count 6
		.amdhsa_user_sgpr_private_segment_buffer 1
		.amdhsa_user_sgpr_dispatch_ptr 0
		.amdhsa_user_sgpr_queue_ptr 0
		.amdhsa_user_sgpr_kernarg_segment_ptr 1
		.amdhsa_user_sgpr_dispatch_id 0
		.amdhsa_user_sgpr_flat_scratch_init 0
		.amdhsa_user_sgpr_private_segment_size 0
		.amdhsa_wavefront_size32 1
		.amdhsa_uses_dynamic_stack 0
		.amdhsa_system_sgpr_private_segment_wavefront_offset 0
		.amdhsa_system_sgpr_workgroup_id_x 1
		.amdhsa_system_sgpr_workgroup_id_y 0
		.amdhsa_system_sgpr_workgroup_id_z 0
		.amdhsa_system_sgpr_workgroup_info 0
		.amdhsa_system_vgpr_workitem_id 0
		.amdhsa_next_free_vgpr 25
		.amdhsa_next_free_sgpr 16
		.amdhsa_reserve_vcc 1
		.amdhsa_reserve_flat_scratch 0
		.amdhsa_float_round_mode_32 0
		.amdhsa_float_round_mode_16_64 0
		.amdhsa_float_denorm_mode_32 3
		.amdhsa_float_denorm_mode_16_64 3
		.amdhsa_dx10_clamp 1
		.amdhsa_ieee_mode 1
		.amdhsa_fp16_overflow 0
		.amdhsa_workgroup_processor_mode 1
		.amdhsa_memory_ordered 1
		.amdhsa_forward_progress 1
		.amdhsa_shared_vgpr_count 0
		.amdhsa_exception_fp_ieee_invalid_op 0
		.amdhsa_exception_fp_denorm_src 0
		.amdhsa_exception_fp_ieee_div_zero 0
		.amdhsa_exception_fp_ieee_overflow 0
		.amdhsa_exception_fp_ieee_underflow 0
		.amdhsa_exception_fp_ieee_inexact 0
		.amdhsa_exception_int_div_zero 0
	.end_amdhsa_kernel
	.section	.text._ZN6thrust23THRUST_200600_302600_NS11hip_rocprim14__parallel_for6kernelILj256EZNS1_16__set_operations9doit_stepILb0ENS0_6detail15normal_iteratorINS0_10device_ptrIKiEEEESB_PiSC_lNS7_INS8_IiEEEESC_NS0_4lessIiEENS4_21serial_set_differenceEEE10hipError_tPvRmT0_T1_T2_T3_T4_SP_T5_T6_PSP_T7_T8_P12ihipStream_tbEUllE_jLj1EEEvSL_SM_SM_,"axG",@progbits,_ZN6thrust23THRUST_200600_302600_NS11hip_rocprim14__parallel_for6kernelILj256EZNS1_16__set_operations9doit_stepILb0ENS0_6detail15normal_iteratorINS0_10device_ptrIKiEEEESB_PiSC_lNS7_INS8_IiEEEESC_NS0_4lessIiEENS4_21serial_set_differenceEEE10hipError_tPvRmT0_T1_T2_T3_T4_SP_T5_T6_PSP_T7_T8_P12ihipStream_tbEUllE_jLj1EEEvSL_SM_SM_,comdat
.Lfunc_end24:
	.size	_ZN6thrust23THRUST_200600_302600_NS11hip_rocprim14__parallel_for6kernelILj256EZNS1_16__set_operations9doit_stepILb0ENS0_6detail15normal_iteratorINS0_10device_ptrIKiEEEESB_PiSC_lNS7_INS8_IiEEEESC_NS0_4lessIiEENS4_21serial_set_differenceEEE10hipError_tPvRmT0_T1_T2_T3_T4_SP_T5_T6_PSP_T7_T8_P12ihipStream_tbEUllE_jLj1EEEvSL_SM_SM_, .Lfunc_end24-_ZN6thrust23THRUST_200600_302600_NS11hip_rocprim14__parallel_for6kernelILj256EZNS1_16__set_operations9doit_stepILb0ENS0_6detail15normal_iteratorINS0_10device_ptrIKiEEEESB_PiSC_lNS7_INS8_IiEEEESC_NS0_4lessIiEENS4_21serial_set_differenceEEE10hipError_tPvRmT0_T1_T2_T3_T4_SP_T5_T6_PSP_T7_T8_P12ihipStream_tbEUllE_jLj1EEEvSL_SM_SM_
                                        ; -- End function
	.set _ZN6thrust23THRUST_200600_302600_NS11hip_rocprim14__parallel_for6kernelILj256EZNS1_16__set_operations9doit_stepILb0ENS0_6detail15normal_iteratorINS0_10device_ptrIKiEEEESB_PiSC_lNS7_INS8_IiEEEESC_NS0_4lessIiEENS4_21serial_set_differenceEEE10hipError_tPvRmT0_T1_T2_T3_T4_SP_T5_T6_PSP_T7_T8_P12ihipStream_tbEUllE_jLj1EEEvSL_SM_SM_.num_vgpr, 25
	.set _ZN6thrust23THRUST_200600_302600_NS11hip_rocprim14__parallel_for6kernelILj256EZNS1_16__set_operations9doit_stepILb0ENS0_6detail15normal_iteratorINS0_10device_ptrIKiEEEESB_PiSC_lNS7_INS8_IiEEEESC_NS0_4lessIiEENS4_21serial_set_differenceEEE10hipError_tPvRmT0_T1_T2_T3_T4_SP_T5_T6_PSP_T7_T8_P12ihipStream_tbEUllE_jLj1EEEvSL_SM_SM_.num_agpr, 0
	.set _ZN6thrust23THRUST_200600_302600_NS11hip_rocprim14__parallel_for6kernelILj256EZNS1_16__set_operations9doit_stepILb0ENS0_6detail15normal_iteratorINS0_10device_ptrIKiEEEESB_PiSC_lNS7_INS8_IiEEEESC_NS0_4lessIiEENS4_21serial_set_differenceEEE10hipError_tPvRmT0_T1_T2_T3_T4_SP_T5_T6_PSP_T7_T8_P12ihipStream_tbEUllE_jLj1EEEvSL_SM_SM_.numbered_sgpr, 16
	.set _ZN6thrust23THRUST_200600_302600_NS11hip_rocprim14__parallel_for6kernelILj256EZNS1_16__set_operations9doit_stepILb0ENS0_6detail15normal_iteratorINS0_10device_ptrIKiEEEESB_PiSC_lNS7_INS8_IiEEEESC_NS0_4lessIiEENS4_21serial_set_differenceEEE10hipError_tPvRmT0_T1_T2_T3_T4_SP_T5_T6_PSP_T7_T8_P12ihipStream_tbEUllE_jLj1EEEvSL_SM_SM_.num_named_barrier, 0
	.set _ZN6thrust23THRUST_200600_302600_NS11hip_rocprim14__parallel_for6kernelILj256EZNS1_16__set_operations9doit_stepILb0ENS0_6detail15normal_iteratorINS0_10device_ptrIKiEEEESB_PiSC_lNS7_INS8_IiEEEESC_NS0_4lessIiEENS4_21serial_set_differenceEEE10hipError_tPvRmT0_T1_T2_T3_T4_SP_T5_T6_PSP_T7_T8_P12ihipStream_tbEUllE_jLj1EEEvSL_SM_SM_.private_seg_size, 0
	.set _ZN6thrust23THRUST_200600_302600_NS11hip_rocprim14__parallel_for6kernelILj256EZNS1_16__set_operations9doit_stepILb0ENS0_6detail15normal_iteratorINS0_10device_ptrIKiEEEESB_PiSC_lNS7_INS8_IiEEEESC_NS0_4lessIiEENS4_21serial_set_differenceEEE10hipError_tPvRmT0_T1_T2_T3_T4_SP_T5_T6_PSP_T7_T8_P12ihipStream_tbEUllE_jLj1EEEvSL_SM_SM_.uses_vcc, 1
	.set _ZN6thrust23THRUST_200600_302600_NS11hip_rocprim14__parallel_for6kernelILj256EZNS1_16__set_operations9doit_stepILb0ENS0_6detail15normal_iteratorINS0_10device_ptrIKiEEEESB_PiSC_lNS7_INS8_IiEEEESC_NS0_4lessIiEENS4_21serial_set_differenceEEE10hipError_tPvRmT0_T1_T2_T3_T4_SP_T5_T6_PSP_T7_T8_P12ihipStream_tbEUllE_jLj1EEEvSL_SM_SM_.uses_flat_scratch, 0
	.set _ZN6thrust23THRUST_200600_302600_NS11hip_rocprim14__parallel_for6kernelILj256EZNS1_16__set_operations9doit_stepILb0ENS0_6detail15normal_iteratorINS0_10device_ptrIKiEEEESB_PiSC_lNS7_INS8_IiEEEESC_NS0_4lessIiEENS4_21serial_set_differenceEEE10hipError_tPvRmT0_T1_T2_T3_T4_SP_T5_T6_PSP_T7_T8_P12ihipStream_tbEUllE_jLj1EEEvSL_SM_SM_.has_dyn_sized_stack, 0
	.set _ZN6thrust23THRUST_200600_302600_NS11hip_rocprim14__parallel_for6kernelILj256EZNS1_16__set_operations9doit_stepILb0ENS0_6detail15normal_iteratorINS0_10device_ptrIKiEEEESB_PiSC_lNS7_INS8_IiEEEESC_NS0_4lessIiEENS4_21serial_set_differenceEEE10hipError_tPvRmT0_T1_T2_T3_T4_SP_T5_T6_PSP_T7_T8_P12ihipStream_tbEUllE_jLj1EEEvSL_SM_SM_.has_recursion, 0
	.set _ZN6thrust23THRUST_200600_302600_NS11hip_rocprim14__parallel_for6kernelILj256EZNS1_16__set_operations9doit_stepILb0ENS0_6detail15normal_iteratorINS0_10device_ptrIKiEEEESB_PiSC_lNS7_INS8_IiEEEESC_NS0_4lessIiEENS4_21serial_set_differenceEEE10hipError_tPvRmT0_T1_T2_T3_T4_SP_T5_T6_PSP_T7_T8_P12ihipStream_tbEUllE_jLj1EEEvSL_SM_SM_.has_indirect_call, 0
	.section	.AMDGPU.csdata,"",@progbits
; Kernel info:
; codeLenInByte = 4980
; TotalNumSgprs: 18
; NumVgprs: 25
; ScratchSize: 0
; MemoryBound: 0
; FloatMode: 240
; IeeeMode: 1
; LDSByteSize: 0 bytes/workgroup (compile time only)
; SGPRBlocks: 0
; VGPRBlocks: 3
; NumSGPRsForWavesPerEU: 18
; NumVGPRsForWavesPerEU: 25
; Occupancy: 16
; WaveLimiterHint : 0
; COMPUTE_PGM_RSRC2:SCRATCH_EN: 0
; COMPUTE_PGM_RSRC2:USER_SGPR: 6
; COMPUTE_PGM_RSRC2:TRAP_HANDLER: 0
; COMPUTE_PGM_RSRC2:TGID_X_EN: 1
; COMPUTE_PGM_RSRC2:TGID_Y_EN: 0
; COMPUTE_PGM_RSRC2:TGID_Z_EN: 0
; COMPUTE_PGM_RSRC2:TIDIG_COMP_CNT: 0
	.section	.text._ZN6thrust23THRUST_200600_302600_NS11hip_rocprim16__set_operations22lookback_set_op_kernelIN7rocprim17ROCPRIM_400000_NS13kernel_configILj256ELj16ELj4294967295EEELb0ENS0_6detail15normal_iteratorINS0_10device_ptrIKiEEEESD_PiSE_lNS9_INSA_IiEEEESE_NS0_4lessIiEENS2_21serial_set_differenceENS5_6detail19lookback_scan_stateIlLb0ELb1EEEEEvT1_T2_T3_T4_T6_T7_T8_T9_PNS0_4pairIT5_SW_EEPSW_T10_NSK_16ordered_block_idIjEE,"axG",@progbits,_ZN6thrust23THRUST_200600_302600_NS11hip_rocprim16__set_operations22lookback_set_op_kernelIN7rocprim17ROCPRIM_400000_NS13kernel_configILj256ELj16ELj4294967295EEELb0ENS0_6detail15normal_iteratorINS0_10device_ptrIKiEEEESD_PiSE_lNS9_INSA_IiEEEESE_NS0_4lessIiEENS2_21serial_set_differenceENS5_6detail19lookback_scan_stateIlLb0ELb1EEEEEvT1_T2_T3_T4_T6_T7_T8_T9_PNS0_4pairIT5_SW_EEPSW_T10_NSK_16ordered_block_idIjEE,comdat
	.protected	_ZN6thrust23THRUST_200600_302600_NS11hip_rocprim16__set_operations22lookback_set_op_kernelIN7rocprim17ROCPRIM_400000_NS13kernel_configILj256ELj16ELj4294967295EEELb0ENS0_6detail15normal_iteratorINS0_10device_ptrIKiEEEESD_PiSE_lNS9_INSA_IiEEEESE_NS0_4lessIiEENS2_21serial_set_differenceENS5_6detail19lookback_scan_stateIlLb0ELb1EEEEEvT1_T2_T3_T4_T6_T7_T8_T9_PNS0_4pairIT5_SW_EEPSW_T10_NSK_16ordered_block_idIjEE ; -- Begin function _ZN6thrust23THRUST_200600_302600_NS11hip_rocprim16__set_operations22lookback_set_op_kernelIN7rocprim17ROCPRIM_400000_NS13kernel_configILj256ELj16ELj4294967295EEELb0ENS0_6detail15normal_iteratorINS0_10device_ptrIKiEEEESD_PiSE_lNS9_INSA_IiEEEESE_NS0_4lessIiEENS2_21serial_set_differenceENS5_6detail19lookback_scan_stateIlLb0ELb1EEEEEvT1_T2_T3_T4_T6_T7_T8_T9_PNS0_4pairIT5_SW_EEPSW_T10_NSK_16ordered_block_idIjEE
	.globl	_ZN6thrust23THRUST_200600_302600_NS11hip_rocprim16__set_operations22lookback_set_op_kernelIN7rocprim17ROCPRIM_400000_NS13kernel_configILj256ELj16ELj4294967295EEELb0ENS0_6detail15normal_iteratorINS0_10device_ptrIKiEEEESD_PiSE_lNS9_INSA_IiEEEESE_NS0_4lessIiEENS2_21serial_set_differenceENS5_6detail19lookback_scan_stateIlLb0ELb1EEEEEvT1_T2_T3_T4_T6_T7_T8_T9_PNS0_4pairIT5_SW_EEPSW_T10_NSK_16ordered_block_idIjEE
	.p2align	8
	.type	_ZN6thrust23THRUST_200600_302600_NS11hip_rocprim16__set_operations22lookback_set_op_kernelIN7rocprim17ROCPRIM_400000_NS13kernel_configILj256ELj16ELj4294967295EEELb0ENS0_6detail15normal_iteratorINS0_10device_ptrIKiEEEESD_PiSE_lNS9_INSA_IiEEEESE_NS0_4lessIiEENS2_21serial_set_differenceENS5_6detail19lookback_scan_stateIlLb0ELb1EEEEEvT1_T2_T3_T4_T6_T7_T8_T9_PNS0_4pairIT5_SW_EEPSW_T10_NSK_16ordered_block_idIjEE,@function
_ZN6thrust23THRUST_200600_302600_NS11hip_rocprim16__set_operations22lookback_set_op_kernelIN7rocprim17ROCPRIM_400000_NS13kernel_configILj256ELj16ELj4294967295EEELb0ENS0_6detail15normal_iteratorINS0_10device_ptrIKiEEEESD_PiSE_lNS9_INSA_IiEEEESE_NS0_4lessIiEENS2_21serial_set_differenceENS5_6detail19lookback_scan_stateIlLb0ELb1EEEEEvT1_T2_T3_T4_T6_T7_T8_T9_PNS0_4pairIT5_SW_EEPSW_T10_NSK_16ordered_block_idIjEE: ; @_ZN6thrust23THRUST_200600_302600_NS11hip_rocprim16__set_operations22lookback_set_op_kernelIN7rocprim17ROCPRIM_400000_NS13kernel_configILj256ELj16ELj4294967295EEELb0ENS0_6detail15normal_iteratorINS0_10device_ptrIKiEEEESD_PiSE_lNS9_INSA_IiEEEESE_NS0_4lessIiEENS2_21serial_set_differenceENS5_6detail19lookback_scan_stateIlLb0ELb1EEEEEvT1_T2_T3_T4_T6_T7_T8_T9_PNS0_4pairIT5_SW_EEPSW_T10_NSK_16ordered_block_idIjEE
; %bb.0:
	s_clause 0x2
	s_load_dword s1, s[4:5], 0x64
	s_load_dword s0, s[4:5], 0x58
	s_load_dwordx8 s[12:19], s[4:5], 0x38
	s_waitcnt lgkmcnt(0)
	s_lshr_b32 s2, s1, 16
	s_and_b32 s1, s1, 0xffff
	v_mad_u32_u24 v1, v2, s2, v1
	v_sub_nc_u32_e32 v2, 0, v0
	v_mul_lo_u32 v1, v1, s1
	s_mov_b32 s1, exec_lo
	v_cmpx_eq_u32_e64 v1, v2
	s_cbranch_execz .LBB25_4
; %bb.1:
	s_mov_b32 s3, exec_lo
	s_mov_b32 s2, exec_lo
	v_mbcnt_lo_u32_b32 v1, s3, 0
                                        ; implicit-def: $vgpr2
	v_cmpx_eq_u32_e32 0, v1
	s_cbranch_execz .LBB25_3
; %bb.2:
	s_bcnt1_i32_b32 s3, s3
	v_mov_b32_e32 v2, 0
	v_mov_b32_e32 v3, s3
	global_atomic_add v2, v2, v3, s[18:19] glc
.LBB25_3:
	s_or_b32 exec_lo, exec_lo, s2
	s_waitcnt vmcnt(0)
	v_readfirstlane_b32 s2, v2
	v_mov_b32_e32 v2, 0
	v_add_nc_u32_e32 v1, s2, v1
	ds_write_b32 v2, v1 offset:36864
.LBB25_4:
	s_or_b32 exec_lo, exec_lo, s1
	v_mov_b32_e32 v1, 0
	s_waitcnt lgkmcnt(0)
	s_barrier
	buffer_gl0_inv
	s_add_i32 s6, s0, -1
	ds_read_b32 v10, v1 offset:36864
	s_load_dwordx2 s[18:19], s[4:5], 0x20
	s_waitcnt lgkmcnt(0)
	v_readfirstlane_b32 s20, v10
	v_cmp_le_i32_e32 vcc_lo, s6, v10
	s_ashr_i32 s21, s20, 31
	s_lshl_b64 s[2:3], s[20:21], 4
	s_add_u32 s0, s12, s2
	s_addc_u32 s1, s13, s3
	s_clause 0x1
	global_load_dwordx4 v[2:5], v1, s[0:1]
	global_load_dwordx4 v[6:9], v1, s[0:1] offset:16
	s_load_dwordx4 s[0:3], s[4:5], 0x0
	s_and_b32 vcc_lo, exec_lo, vcc_lo
	s_waitcnt vmcnt(1)
	v_readfirstlane_b32 s7, v2
	s_waitcnt vmcnt(0)
	v_sub_nc_u32_e32 v17, v8, v4
	v_lshlrev_b64 v[4:5], 2, v[4:5]
	v_readfirstlane_b32 s4, v6
	v_mov_b32_e32 v2, s7
	s_sub_i32 s21, s4, s7
	v_lshlrev_b64 v[2:3], 2, v[2:3]
	s_waitcnt lgkmcnt(0)
	v_add_co_u32 v20, s0, s0, v2
	v_add_co_ci_u32_e64 v21, null, s1, v3, s0
	v_add_co_u32 v18, s0, s2, v4
	v_add_co_ci_u32_e64 v19, null, s3, v5, s0
	s_mov_b32 s0, -1
	s_cbranch_vccz .LBB25_251
; %bb.5:
	v_add_nc_u32_e32 v3, s21, v17
	v_mov_b32_e32 v2, v1
	v_mov_b32_e32 v4, v1
	;; [unrolled: 1-line block ×15, first 2 shown]
	s_mov_b32 s0, exec_lo
	v_cmpx_lt_i32_e64 v0, v3
	s_cbranch_execz .LBB25_7
; %bb.6:
	v_mov_b32_e32 v2, 0
	v_subrev_nc_u32_e32 v1, s21, v0
	v_lshlrev_b32_e32 v6, 2, v0
	v_mov_b32_e32 v7, v2
	v_lshlrev_b64 v[4:5], 2, v[1:2]
	v_add_co_u32 v1, vcc_lo, v20, v6
	v_add_co_ci_u32_e64 v6, null, 0, v21, vcc_lo
	v_mov_b32_e32 v8, v2
	v_add_co_u32 v4, vcc_lo, v18, v4
	v_add_co_ci_u32_e64 v5, null, v19, v5, vcc_lo
	v_cmp_gt_i32_e32 vcc_lo, s21, v0
	v_mov_b32_e32 v9, v2
	v_mov_b32_e32 v10, v2
	;; [unrolled: 1-line block ×4, first 2 shown]
	v_cndmask_b32_e32 v5, v5, v6, vcc_lo
	v_cndmask_b32_e32 v4, v4, v1, vcc_lo
	v_mov_b32_e32 v6, v2
	v_mov_b32_e32 v14, v2
	;; [unrolled: 1-line block ×4, first 2 shown]
	global_load_dword v1, v[4:5], off
	v_mov_b32_e32 v4, v2
	v_mov_b32_e32 v5, v2
	v_mov_b32_e32 v16, v2
	v_mov_b32_e32 v23, v2
.LBB25_7:
	s_or_b32 exec_lo, exec_lo, s0
	v_or_b32_e32 v22, 0x100, v0
	s_mov_b32 s0, exec_lo
	v_cmpx_lt_i32_e64 v22, v3
	s_cbranch_execz .LBB25_9
; %bb.8:
	v_lshlrev_b32_e32 v2, 2, v0
	v_mov_b32_e32 v25, 0
	v_subrev_nc_u32_e32 v24, s21, v22
	v_add_co_u32 v2, vcc_lo, v20, v2
	v_lshlrev_b64 v[24:25], 2, v[24:25]
	v_add_co_ci_u32_e64 v26, null, 0, v21, vcc_lo
	v_add_co_u32 v2, vcc_lo, 0x400, v2
	v_add_co_ci_u32_e64 v26, null, 0, v26, vcc_lo
	v_add_co_u32 v24, vcc_lo, v18, v24
	v_add_co_ci_u32_e64 v25, null, v19, v25, vcc_lo
	v_cmp_gt_i32_e32 vcc_lo, s21, v22
	v_cndmask_b32_e32 v25, v25, v26, vcc_lo
	v_cndmask_b32_e32 v24, v24, v2, vcc_lo
	global_load_dword v2, v[24:25], off
.LBB25_9:
	s_or_b32 exec_lo, exec_lo, s0
	v_or_b32_e32 v22, 0x200, v0
	s_mov_b32 s0, exec_lo
	v_cmpx_lt_i32_e64 v22, v3
	s_cbranch_execz .LBB25_11
; %bb.10:
	v_mov_b32_e32 v25, 0
	v_subrev_nc_u32_e32 v24, s21, v22
	v_lshlrev_b32_e32 v4, 2, v22
	v_lshlrev_b64 v[24:25], 2, v[24:25]
	v_add_co_u32 v4, vcc_lo, v20, v4
	v_add_co_ci_u32_e64 v26, null, 0, v21, vcc_lo
	v_add_co_u32 v24, vcc_lo, v18, v24
	v_add_co_ci_u32_e64 v25, null, v19, v25, vcc_lo
	v_cmp_gt_i32_e32 vcc_lo, s21, v22
	v_cndmask_b32_e32 v25, v25, v26, vcc_lo
	v_cndmask_b32_e32 v24, v24, v4, vcc_lo
	global_load_dword v4, v[24:25], off
.LBB25_11:
	s_or_b32 exec_lo, exec_lo, s0
	v_or_b32_e32 v22, 0x300, v0
	s_mov_b32 s0, exec_lo
	v_cmpx_lt_i32_e64 v22, v3
	s_cbranch_execz .LBB25_13
; %bb.12:
	v_mov_b32_e32 v25, 0
	v_subrev_nc_u32_e32 v24, s21, v22
	v_lshlrev_b32_e32 v6, 2, v22
	v_lshlrev_b64 v[24:25], 2, v[24:25]
	v_add_co_u32 v6, vcc_lo, v20, v6
	v_add_co_ci_u32_e64 v26, null, 0, v21, vcc_lo
	v_add_co_u32 v24, vcc_lo, v18, v24
	v_add_co_ci_u32_e64 v25, null, v19, v25, vcc_lo
	v_cmp_gt_i32_e32 vcc_lo, s21, v22
	v_cndmask_b32_e32 v25, v25, v26, vcc_lo
	v_cndmask_b32_e32 v24, v24, v6, vcc_lo
	global_load_dword v6, v[24:25], off
.LBB25_13:
	;; [unrolled: 19-line block ×14, first 2 shown]
	s_or_b32 exec_lo, exec_lo, s0
	v_lshlrev_b32_e32 v24, 4, v0
	v_lshlrev_b32_e32 v22, 2, v0
	s_lshl_b32 s0, s21, 2
	s_mov_b32 s2, 0
	s_addk_i32 s0, 0x4800
	v_min_i32_e32 v3, v3, v24
	s_waitcnt vmcnt(0)
	ds_write2st64_b32 v22, v1, v2 offset0:76 offset1:80
	ds_write2st64_b32 v22, v4, v6 offset0:84 offset1:88
	s_mov_b32 s1, exec_lo
	ds_write2st64_b32 v22, v5, v7 offset0:92 offset1:96
	ds_write2st64_b32 v22, v8, v9 offset0:100 offset1:104
	;; [unrolled: 1-line block ×6, first 2 shown]
	v_sub_nc_u32_e32 v1, v3, v17
	v_min_i32_e32 v2, s21, v3
	s_waitcnt lgkmcnt(0)
	s_barrier
	buffer_gl0_inv
	v_max_i32_e32 v1, 0, v1
	v_cmpx_lt_i32_e64 v1, v2
	s_cbranch_execz .LBB25_41
; %bb.38:
	v_lshlrev_b32_e32 v4, 2, v3
	v_add3_u32 v4, s0, v4, 0x400
	.p2align	6
.LBB25_39:                              ; =>This Inner Loop Header: Depth=1
	v_add_nc_u32_e32 v5, v2, v1
	v_lshrrev_b32_e32 v5, 1, v5
	v_not_b32_e32 v6, v5
	v_lshlrev_b32_e32 v7, 2, v5
	v_add_nc_u32_e32 v8, 1, v5
	v_lshl_add_u32 v6, v6, 2, v4
	ds_read_b32 v7, v7 offset:19456
	ds_read_b32 v6, v6
	s_waitcnt lgkmcnt(0)
	v_cmp_lt_i32_e32 vcc_lo, v6, v7
	v_cndmask_b32_e32 v2, v2, v5, vcc_lo
	v_cndmask_b32_e32 v1, v8, v1, vcc_lo
	v_cmp_ge_i32_e32 vcc_lo, v1, v2
	s_or_b32 s2, vcc_lo, s2
	s_andn2_b32 exec_lo, exec_lo, s2
	s_cbranch_execnz .LBB25_39
; %bb.40:
	s_or_b32 exec_lo, exec_lo, s2
.LBB25_41:
	s_or_b32 exec_lo, exec_lo, s1
	v_or_b32_e32 v4, 0x4800, v22
	v_sub_nc_u32_e32 v7, v3, v1
	v_mov_b32_e32 v5, 0
	s_mov_b32 s1, exec_lo
	v_cmpx_lt_i32_e64 v7, v17
	s_cbranch_execz .LBB25_71
; %bb.42:
	v_lshl_add_u32 v5, v7, 2, s0
	v_mov_b32_e32 v2, 0
	v_mov_b32_e32 v8, 0
	s_mov_b32 s2, exec_lo
	ds_read_b32 v6, v5 offset:1024
	v_cmpx_lt_i32_e32 0, v1
	s_cbranch_execnz .LBB25_47
; %bb.43:
	s_or_b32 exec_lo, exec_lo, s2
	s_mov_b32 s2, exec_lo
	v_cmpx_lt_i32_e64 v2, v8
	s_cbranch_execnz .LBB25_48
.LBB25_44:
	s_or_b32 exec_lo, exec_lo, s2
	s_mov_b32 s2, exec_lo
	v_cmpx_lt_i32_e64 v2, v8
	s_cbranch_execnz .LBB25_49
.LBB25_45:
	s_or_b32 exec_lo, exec_lo, s2
	s_mov_b32 s2, exec_lo
	v_cmpx_lt_i32_e64 v2, v8
	s_cbranch_execnz .LBB25_50
.LBB25_46:
	s_or_b32 exec_lo, exec_lo, s2
	s_mov_b32 s2, exec_lo
	v_cmpx_lt_i32_e64 v2, v8
	s_cbranch_execnz .LBB25_51
	s_branch .LBB25_54
.LBB25_47:
	v_mul_lo_u32 v2, 0x1ff, v1
	v_ashrrev_i32_e32 v8, 9, v2
	v_lshlrev_b32_e32 v2, 2, v8
	v_add_nc_u32_e32 v9, 1, v8
	ds_read_b32 v2, v2 offset:19456
	s_waitcnt lgkmcnt(0)
	v_cmp_lt_i32_e32 vcc_lo, v2, v6
	v_cndmask_b32_e32 v2, 0, v9, vcc_lo
	v_cndmask_b32_e32 v8, v8, v1, vcc_lo
	s_or_b32 exec_lo, exec_lo, s2
	s_mov_b32 s2, exec_lo
	v_cmpx_lt_i32_e64 v2, v8
	s_cbranch_execz .LBB25_44
.LBB25_48:
	v_sub_nc_u32_e32 v9, v2, v8
	v_lshl_add_u32 v9, v8, 7, v9
	v_ashrrev_i32_e32 v9, 7, v9
	v_lshlrev_b32_e32 v10, 2, v9
	v_add_nc_u32_e32 v11, 1, v9
	ds_read_b32 v10, v10 offset:19456
	s_waitcnt lgkmcnt(0)
	v_cmp_lt_i32_e32 vcc_lo, v10, v6
	v_cndmask_b32_e32 v2, v2, v11, vcc_lo
	v_cndmask_b32_e32 v8, v9, v8, vcc_lo
	s_or_b32 exec_lo, exec_lo, s2
	s_mov_b32 s2, exec_lo
	v_cmpx_lt_i32_e64 v2, v8
	s_cbranch_execz .LBB25_45
.LBB25_49:
	v_sub_nc_u32_e32 v9, v2, v8
	v_lshl_add_u32 v9, v8, 5, v9
	v_ashrrev_i32_e32 v9, 5, v9
	v_lshlrev_b32_e32 v10, 2, v9
	v_add_nc_u32_e32 v11, 1, v9
	ds_read_b32 v10, v10 offset:19456
	s_waitcnt lgkmcnt(0)
	v_cmp_lt_i32_e32 vcc_lo, v10, v6
	v_cndmask_b32_e32 v2, v2, v11, vcc_lo
	v_cndmask_b32_e32 v8, v9, v8, vcc_lo
	s_or_b32 exec_lo, exec_lo, s2
	s_mov_b32 s2, exec_lo
	v_cmpx_lt_i32_e64 v2, v8
	s_cbranch_execz .LBB25_46
.LBB25_50:
	v_sub_nc_u32_e32 v9, v2, v8
	v_lshl_add_u32 v9, v8, 4, v9
	v_ashrrev_i32_e32 v9, 4, v9
	v_lshlrev_b32_e32 v10, 2, v9
	v_add_nc_u32_e32 v11, 1, v9
	ds_read_b32 v10, v10 offset:19456
	s_waitcnt lgkmcnt(0)
	v_cmp_lt_i32_e32 vcc_lo, v10, v6
	v_cndmask_b32_e32 v2, v2, v11, vcc_lo
	v_cndmask_b32_e32 v8, v9, v8, vcc_lo
	s_or_b32 exec_lo, exec_lo, s2
	s_mov_b32 s2, exec_lo
	v_cmpx_lt_i32_e64 v2, v8
	s_cbranch_execz .LBB25_54
.LBB25_51:
	s_mov_b32 s3, 0
.LBB25_52:                              ; =>This Inner Loop Header: Depth=1
	v_sub_nc_u32_e32 v9, v2, v8
	v_lshl_add_u32 v9, v8, 1, v9
	v_ashrrev_i32_e32 v9, 1, v9
	v_lshlrev_b32_e32 v10, 2, v9
	v_add_nc_u32_e32 v11, 1, v9
	ds_read_b32 v10, v10 offset:19456
	s_waitcnt lgkmcnt(0)
	v_cmp_lt_i32_e32 vcc_lo, v10, v6
	v_cndmask_b32_e32 v2, v2, v11, vcc_lo
	v_cndmask_b32_e32 v8, v9, v8, vcc_lo
	v_cmp_ge_i32_e32 vcc_lo, v2, v8
	s_or_b32 s3, vcc_lo, s3
	s_andn2_b32 exec_lo, exec_lo, s3
	s_cbranch_execnz .LBB25_52
; %bb.53:
	s_or_b32 exec_lo, exec_lo, s3
.LBB25_54:
	s_or_b32 exec_lo, exec_lo, s2
	v_mov_b32_e32 v8, 0
	v_mov_b32_e32 v9, v7
	s_mov_b32 s2, exec_lo
	v_cmpx_lt_i32_e32 0, v7
	s_cbranch_execnz .LBB25_59
; %bb.55:
	s_or_b32 exec_lo, exec_lo, s2
	s_mov_b32 s2, exec_lo
	v_cmpx_lt_i32_e64 v8, v9
	s_cbranch_execnz .LBB25_60
.LBB25_56:
	s_or_b32 exec_lo, exec_lo, s2
	s_mov_b32 s2, exec_lo
	v_cmpx_lt_i32_e64 v8, v9
	s_cbranch_execnz .LBB25_61
.LBB25_57:
	s_or_b32 exec_lo, exec_lo, s2
	s_mov_b32 s2, exec_lo
	v_cmpx_lt_i32_e64 v8, v9
	s_cbranch_execnz .LBB25_62
.LBB25_58:
	s_or_b32 exec_lo, exec_lo, s2
	s_mov_b32 s2, exec_lo
	v_cmpx_lt_i32_e64 v8, v9
	s_cbranch_execnz .LBB25_63
	s_branch .LBB25_66
.LBB25_59:
	v_mul_lo_u32 v8, 0x1ff, v7
	v_lshrrev_b32_e32 v9, 9, v8
	v_lshl_add_u32 v8, v9, 2, s0
	v_add_nc_u32_e32 v10, 1, v9
	ds_read_b32 v8, v8 offset:1024
	s_waitcnt lgkmcnt(0)
	v_cmp_lt_i32_e32 vcc_lo, v8, v6
	v_cndmask_b32_e32 v8, 0, v10, vcc_lo
	v_cndmask_b32_e32 v9, v9, v7, vcc_lo
	s_or_b32 exec_lo, exec_lo, s2
	s_mov_b32 s2, exec_lo
	v_cmpx_lt_i32_e64 v8, v9
	s_cbranch_execz .LBB25_56
.LBB25_60:
	v_sub_nc_u32_e32 v10, v8, v9
	v_lshl_add_u32 v10, v9, 7, v10
	v_ashrrev_i32_e32 v10, 7, v10
	v_lshl_add_u32 v11, v10, 2, s0
	v_add_nc_u32_e32 v12, 1, v10
	ds_read_b32 v11, v11 offset:1024
	s_waitcnt lgkmcnt(0)
	v_cmp_lt_i32_e32 vcc_lo, v11, v6
	v_cndmask_b32_e32 v8, v8, v12, vcc_lo
	v_cndmask_b32_e32 v9, v10, v9, vcc_lo
	s_or_b32 exec_lo, exec_lo, s2
	s_mov_b32 s2, exec_lo
	v_cmpx_lt_i32_e64 v8, v9
	s_cbranch_execz .LBB25_57
.LBB25_61:
	v_sub_nc_u32_e32 v10, v8, v9
	v_lshl_add_u32 v10, v9, 5, v10
	v_ashrrev_i32_e32 v10, 5, v10
	v_lshl_add_u32 v11, v10, 2, s0
	v_add_nc_u32_e32 v12, 1, v10
	ds_read_b32 v11, v11 offset:1024
	s_waitcnt lgkmcnt(0)
	v_cmp_lt_i32_e32 vcc_lo, v11, v6
	v_cndmask_b32_e32 v8, v8, v12, vcc_lo
	v_cndmask_b32_e32 v9, v10, v9, vcc_lo
	s_or_b32 exec_lo, exec_lo, s2
	s_mov_b32 s2, exec_lo
	v_cmpx_lt_i32_e64 v8, v9
	s_cbranch_execz .LBB25_58
.LBB25_62:
	v_sub_nc_u32_e32 v10, v8, v9
	v_lshl_add_u32 v10, v9, 4, v10
	v_ashrrev_i32_e32 v10, 4, v10
	v_lshl_add_u32 v11, v10, 2, s0
	v_add_nc_u32_e32 v12, 1, v10
	ds_read_b32 v11, v11 offset:1024
	s_waitcnt lgkmcnt(0)
	v_cmp_lt_i32_e32 vcc_lo, v11, v6
	v_cndmask_b32_e32 v8, v8, v12, vcc_lo
	v_cndmask_b32_e32 v9, v10, v9, vcc_lo
	s_or_b32 exec_lo, exec_lo, s2
	s_mov_b32 s2, exec_lo
	v_cmpx_lt_i32_e64 v8, v9
	s_cbranch_execz .LBB25_66
.LBB25_63:
	s_mov_b32 s3, 0
.LBB25_64:                              ; =>This Inner Loop Header: Depth=1
	v_sub_nc_u32_e32 v10, v8, v9
	v_lshl_add_u32 v10, v9, 1, v10
	v_ashrrev_i32_e32 v10, 1, v10
	v_lshl_add_u32 v11, v10, 2, s0
	v_add_nc_u32_e32 v12, 1, v10
	ds_read_b32 v11, v11 offset:1024
	s_waitcnt lgkmcnt(0)
	v_cmp_lt_i32_e32 vcc_lo, v11, v6
	v_cndmask_b32_e32 v8, v8, v12, vcc_lo
	v_cndmask_b32_e32 v9, v10, v9, vcc_lo
	v_cmp_ge_i32_e32 vcc_lo, v8, v9
	s_or_b32 s3, vcc_lo, s3
	s_andn2_b32 exec_lo, exec_lo, s3
	s_cbranch_execnz .LBB25_64
; %bb.65:
	s_or_b32 exec_lo, exec_lo, s3
.LBB25_66:
	s_or_b32 exec_lo, exec_lo, s2
	v_sub_nc_u32_e32 v1, v1, v2
	v_sub_nc_u32_e32 v10, v7, v8
	s_mov_b32 s0, exec_lo
	v_add_nc_u32_e32 v9, v10, v1
	v_ashrrev_i32_e32 v1, 1, v9
	v_max_i32_e32 v1, v1, v10
	v_add3_u32 v8, v8, v1, 1
	v_min_i32_e32 v8, v8, v17
	v_sub_nc_u32_e32 v8, v8, v7
	v_mov_b32_e32 v7, 0
	v_cmpx_lt_i32_e32 0, v8
	s_cbranch_execz .LBB25_70
; %bb.67:
	v_mov_b32_e32 v7, 0
	s_mov_b32 s2, 0
.LBB25_68:                              ; =>This Inner Loop Header: Depth=1
	v_add_nc_u32_e32 v11, v7, v8
	v_lshrrev_b32_e32 v11, 1, v11
	v_lshl_add_u32 v12, v11, 2, v5
	v_add_nc_u32_e32 v13, 1, v11
	ds_read_b32 v12, v12 offset:1024
	s_waitcnt lgkmcnt(0)
	v_cmp_lt_i32_e32 vcc_lo, v6, v12
	v_cndmask_b32_e32 v7, v13, v7, vcc_lo
	v_cndmask_b32_e32 v8, v8, v11, vcc_lo
	v_cmp_ge_i32_e32 vcc_lo, v7, v8
	s_or_b32 s2, vcc_lo, s2
	s_andn2_b32 exec_lo, exec_lo, s2
	s_cbranch_execnz .LBB25_68
; %bb.69:
	s_or_b32 exec_lo, exec_lo, s2
.LBB25_70:
	s_or_b32 exec_lo, exec_lo, s0
	v_add_nc_u32_e32 v5, v7, v10
	s_waitcnt lgkmcnt(0)
	v_min_i32_e32 v6, v5, v1
	v_cmp_lt_i32_e32 vcc_lo, v1, v5
	v_sub_nc_u32_e32 v7, v9, v6
	v_add_nc_u32_e32 v6, 1, v6
	v_add_nc_u32_e32 v1, v7, v2
	v_cmp_eq_u32_e64 s0, v7, v6
	s_and_b32 s0, vcc_lo, s0
	v_cndmask_b32_e64 v5, 0, 1, s0
.LBB25_71:
	s_or_b32 exec_lo, exec_lo, s1
	v_add_nc_u32_e32 v2, v5, v3
	s_lshl_b32 s0, s21, 16
	v_or_b32_e32 v3, s0, v17
	v_sub_co_u32 v6, s0, v0, 1
	v_sub_nc_u32_e32 v8, v2, v1
	v_lshl_or_b32 v5, v1, 16, v8
	v_cndmask_b32_e64 v7, v5, v3, s0
	v_cndmask_b32_e64 v5, v6, 0xff, s0
	v_add_nc_u32_e32 v3, s21, v8
	v_lshlrev_b32_e32 v6, 2, v1
	v_lshlrev_b32_e32 v9, 2, v5
	;; [unrolled: 1-line block ×3, first 2 shown]
	ds_write_b32 v9, v7 offset:18432
	s_waitcnt lgkmcnt(0)
	s_barrier
	buffer_gl0_inv
	ds_read_b32 v4, v4
	ds_read_b32 v23, v6 offset:19456
	ds_read_b32 v7, v5 offset:19456
	s_waitcnt lgkmcnt(2)
	v_cmp_le_i32_sdwa s3, sext(v4), v1 src0_sel:WORD_1 src1_sel:DWORD
	v_cmp_le_i32_sdwa s2, v4, v8 src0_sel:WORD_0 src1_sel:DWORD
	s_waitcnt lgkmcnt(0)
	v_cmp_lt_i32_e32 vcc_lo, v7, v23
	v_mov_b32_e32 v24, v23
	v_cndmask_b32_e64 v9, 0, 1, s3
	v_cndmask_b32_e64 v8, 0, 1, vcc_lo
	s_or_b32 vcc_lo, s3, s2
	v_cndmask_b32_e32 v8, v8, v9, vcc_lo
	v_and_b32_e32 v8, 1, v8
	v_cmp_eq_u32_e64 s1, 1, v8
	s_xor_b32 s4, s1, -1
	s_and_saveexec_b32 s1, s4
; %bb.72:
	v_add_nc_u32_e32 v6, 0x4800, v6
	v_add_nc_u32_e32 v1, 1, v1
	ds_read_b32 v24, v6 offset:1028
; %bb.73:
	s_or_b32 exec_lo, exec_lo, s1
	v_cmp_lt_i32_e64 s1, v23, v7
	s_xor_b32 s3, s3, -1
	v_cndmask_b32_e64 v6, 0, 1, s1
	s_and_b32 s1, s2, s3
	v_cndmask_b32_e64 v8, 0, 1, s1
	v_cndmask_b32_e32 v6, v6, v8, vcc_lo
	v_and_b32_e32 v6, 1, v6
	v_cmp_eq_u32_e32 vcc_lo, 1, v6
	s_xor_b32 s2, vcc_lo, -1
	s_and_saveexec_b32 s1, s2
; %bb.74:
	v_add_nc_u32_e32 v5, 0x4800, v5
	v_add_nc_u32_e32 v3, 1, v3
	ds_read_b32 v7, v5 offset:1028
; %bb.75:
	s_or_b32 exec_lo, exec_lo, s1
	v_add_nc_u32_sdwa v8, v4, s21 dst_sel:DWORD dst_unused:UNUSED_PAD src0_sel:WORD_0 src1_sel:DWORD
	v_cmp_ge_i32_sdwa s3, v1, sext(v4) src0_sel:DWORD src1_sel:WORD_1
	s_waitcnt lgkmcnt(0)
	v_cmp_lt_i32_e64 s2, v7, v24
	v_mov_b32_e32 v25, v24
	v_cmp_ge_i32_e64 s1, v3, v8
	v_cndmask_b32_e64 v5, 0, 1, s3
	v_cndmask_b32_e64 v6, 0, 1, s2
	s_or_b32 s2, s3, s1
	v_cndmask_b32_e64 v5, v6, v5, s2
	v_and_b32_e32 v5, 1, v5
	v_cmp_eq_u32_e64 s2, 1, v5
	v_mov_b32_e32 v5, v1
	s_xor_b32 s4, s2, -1
	s_and_saveexec_b32 s2, s4
; %bb.76:
	v_lshlrev_b32_e32 v5, 2, v1
	ds_read_b32 v25, v5 offset:19460
	v_add_nc_u32_e32 v5, 1, v1
; %bb.77:
	s_or_b32 exec_lo, exec_lo, s2
	v_cmp_lt_i32_e64 s2, v24, v7
	v_mov_b32_e32 v6, v3
	s_or_b32 s1, s1, s2
	s_xor_b32 s2, s3, -1
	s_and_b32 s23, s2, s1
	s_xor_b32 s2, s23, -1
	s_and_saveexec_b32 s1, s2
; %bb.78:
	v_lshlrev_b32_e32 v6, 2, v3
	ds_read_b32 v7, v6 offset:19460
	v_add_nc_u32_e32 v6, 1, v3
; %bb.79:
	s_or_b32 exec_lo, exec_lo, s1
	v_cmp_ge_i32_sdwa s3, v5, sext(v4) src0_sel:DWORD src1_sel:WORD_1
	s_waitcnt lgkmcnt(0)
	v_cmp_lt_i32_e64 s2, v7, v25
	v_cmp_ge_i32_e64 s1, v6, v8
	v_mov_b32_e32 v26, v25
	v_cndmask_b32_e64 v9, 0, 1, s3
	v_cndmask_b32_e64 v10, 0, 1, s2
	s_or_b32 s2, s3, s1
	v_cndmask_b32_e64 v9, v10, v9, s2
	v_and_b32_e32 v9, 1, v9
	v_cmp_eq_u32_e64 s2, 1, v9
	v_mov_b32_e32 v9, v5
	s_xor_b32 s4, s2, -1
	s_and_saveexec_b32 s2, s4
; %bb.80:
	v_lshlrev_b32_e32 v9, 2, v5
	ds_read_b32 v26, v9 offset:19460
	v_add_nc_u32_e32 v9, 1, v5
; %bb.81:
	s_or_b32 exec_lo, exec_lo, s2
	v_cmp_lt_i32_e64 s2, v25, v7
	v_mov_b32_e32 v10, v6
	s_or_b32 s1, s1, s2
	s_xor_b32 s2, s3, -1
	s_and_b32 s22, s2, s1
	s_xor_b32 s2, s22, -1
	s_and_saveexec_b32 s1, s2
; %bb.82:
	v_lshlrev_b32_e32 v7, 2, v6
	v_add_nc_u32_e32 v10, 1, v6
	ds_read_b32 v7, v7 offset:19460
; %bb.83:
	s_or_b32 exec_lo, exec_lo, s1
	v_cmp_ge_i32_sdwa s3, v9, sext(v4) src0_sel:DWORD src1_sel:WORD_1
	s_waitcnt lgkmcnt(0)
	v_cmp_lt_i32_e64 s2, v7, v26
	v_cmp_ge_i32_e64 s1, v10, v8
	v_mov_b32_e32 v27, v26
	v_cndmask_b32_e64 v11, 0, 1, s3
	v_cndmask_b32_e64 v12, 0, 1, s2
	s_or_b32 s2, s3, s1
	v_cndmask_b32_e64 v11, v12, v11, s2
	v_and_b32_e32 v11, 1, v11
	v_cmp_eq_u32_e64 s2, 1, v11
	v_mov_b32_e32 v11, v9
	s_xor_b32 s4, s2, -1
	s_and_saveexec_b32 s2, s4
; %bb.84:
	v_lshlrev_b32_e32 v11, 2, v9
	ds_read_b32 v27, v11 offset:19460
	v_add_nc_u32_e32 v11, 1, v9
; %bb.85:
	s_or_b32 exec_lo, exec_lo, s2
	v_cmp_lt_i32_e64 s2, v26, v7
	v_mov_b32_e32 v12, v10
	s_or_b32 s1, s1, s2
	s_xor_b32 s2, s3, -1
	s_and_b32 s24, s2, s1
	s_xor_b32 s2, s24, -1
	s_and_saveexec_b32 s1, s2
; %bb.86:
	v_lshlrev_b32_e32 v7, 2, v10
	v_add_nc_u32_e32 v12, 1, v10
	ds_read_b32 v7, v7 offset:19460
	;; [unrolled: 33-line block ×4, first 2 shown]
; %bb.95:
	s_or_b32 exec_lo, exec_lo, s1
	v_cmp_ge_i32_sdwa s3, v15, sext(v4) src0_sel:DWORD src1_sel:WORD_1
	s_waitcnt lgkmcnt(0)
	v_cmp_lt_i32_e64 s2, v7, v29
	v_cmp_ge_i32_e64 s1, v16, v8
	v_mov_b32_e32 v39, v15
	v_cndmask_b32_e64 v30, 0, 1, s3
	v_cndmask_b32_e64 v31, 0, 1, s2
	s_or_b32 s2, s3, s1
	v_cndmask_b32_e64 v30, v31, v30, s2
	v_and_b32_e32 v30, 1, v30
	v_cmp_eq_u32_e64 s2, 1, v30
	v_mov_b32_e32 v30, v29
	s_xor_b32 s4, s2, -1
	s_and_saveexec_b32 s2, s4
; %bb.96:
	v_lshlrev_b32_e32 v30, 2, v15
	v_add_nc_u32_e32 v39, 1, v15
	ds_read_b32 v30, v30 offset:19460
; %bb.97:
	s_or_b32 exec_lo, exec_lo, s2
	v_cmp_lt_i32_e64 s2, v29, v7
	v_mov_b32_e32 v40, v16
	s_or_b32 s1, s1, s2
	s_xor_b32 s2, s3, -1
	s_and_b32 s27, s2, s1
	s_xor_b32 s2, s27, -1
	s_and_saveexec_b32 s1, s2
; %bb.98:
	v_lshlrev_b32_e32 v7, 2, v16
	v_add_nc_u32_e32 v40, 1, v16
	ds_read_b32 v7, v7 offset:19460
; %bb.99:
	s_or_b32 exec_lo, exec_lo, s1
	v_cmp_ge_i32_sdwa s3, v39, sext(v4) src0_sel:DWORD src1_sel:WORD_1
	s_waitcnt lgkmcnt(0)
	v_cmp_lt_i32_e64 s2, v7, v30
	v_cmp_ge_i32_e64 s1, v40, v8
	v_mov_b32_e32 v41, v39
	v_cndmask_b32_e64 v31, 0, 1, s3
	v_cndmask_b32_e64 v32, 0, 1, s2
	s_or_b32 s2, s3, s1
	v_cndmask_b32_e64 v31, v32, v31, s2
	v_and_b32_e32 v31, 1, v31
	v_cmp_eq_u32_e64 s2, 1, v31
	v_mov_b32_e32 v31, v30
	s_xor_b32 s4, s2, -1
	s_and_saveexec_b32 s2, s4
; %bb.100:
	v_lshlrev_b32_e32 v31, 2, v39
	v_add_nc_u32_e32 v41, 1, v39
	ds_read_b32 v31, v31 offset:19460
; %bb.101:
	s_or_b32 exec_lo, exec_lo, s2
	v_cmp_lt_i32_e64 s2, v30, v7
	v_mov_b32_e32 v42, v40
	s_or_b32 s1, s1, s2
	s_xor_b32 s2, s3, -1
	s_and_b32 s28, s2, s1
	s_xor_b32 s2, s28, -1
	s_and_saveexec_b32 s1, s2
; %bb.102:
	v_lshlrev_b32_e32 v7, 2, v40
	v_add_nc_u32_e32 v42, 1, v40
	ds_read_b32 v7, v7 offset:19460
	;; [unrolled: 33-line block ×8, first 2 shown]
; %bb.127:
	s_or_b32 exec_lo, exec_lo, s1
	v_cmp_ge_i32_sdwa s3, v53, sext(v4) src0_sel:DWORD src1_sel:WORD_1
	s_waitcnt lgkmcnt(0)
	v_cmp_lt_i32_e64 s2, v7, v37
	v_cmp_ge_i32_e64 s1, v54, v8
	v_cndmask_b32_e64 v38, 0, 1, s3
	v_cndmask_b32_e64 v55, 0, 1, s2
	s_or_b32 s2, s3, s1
	v_cndmask_b32_e64 v38, v55, v38, s2
	v_mov_b32_e32 v55, v53
	v_and_b32_e32 v38, 1, v38
	v_cmp_eq_u32_e64 s2, 1, v38
	v_mov_b32_e32 v38, v37
	s_xor_b32 s4, s2, -1
	s_and_saveexec_b32 s2, s4
; %bb.128:
	v_lshlrev_b32_e32 v38, 2, v53
	v_add_nc_u32_e32 v55, 1, v53
	ds_read_b32 v38, v38 offset:19460
; %bb.129:
	s_or_b32 exec_lo, exec_lo, s2
	v_cmp_lt_i32_e64 s2, v37, v7
	v_mov_b32_e32 v56, v54
	s_or_b32 s1, s1, s2
	s_xor_b32 s2, s3, -1
	s_and_b32 s36, s2, s1
	s_xor_b32 s2, s36, -1
	s_and_saveexec_b32 s1, s2
; %bb.130:
	v_lshlrev_b32_e32 v7, 2, v54
	v_add_nc_u32_e32 v56, 1, v54
	ds_read_b32 v7, v7 offset:19460
; %bb.131:
	s_or_b32 exec_lo, exec_lo, s1
	v_add_nc_u32_sdwa v58, v8, sext(v4) dst_sel:DWORD dst_unused:UNUSED_PAD src0_sel:DWORD src1_sel:WORD_1
	v_cmp_lt_i32_sdwa s4, v55, sext(v4) src0_sel:DWORD src1_sel:WORD_1
	v_cmp_ge_i32_e64 s1, v56, v8
	s_waitcnt lgkmcnt(0)
	v_cmp_lt_i32_e64 s2, v38, v7
	v_add_nc_u32_e32 v4, v54, v53
	v_add_nc_u32_e32 v57, v56, v55
	;; [unrolled: 1-line block ×4, first 2 shown]
	s_or_b32 s37, s1, s2
	v_cmp_lt_i32_e64 s1, v4, v58
	v_add_nc_u32_e32 v4, v40, v39
	v_cmp_lt_i32_e64 s3, v57, v58
	v_add_nc_u32_e32 v7, v52, v51
	v_add_nc_u32_e32 v8, v50, v49
	;; [unrolled: 1-line block ×3, first 2 shown]
	v_cmp_lt_i32_e64 s6, v4, v58
	v_add_nc_u32_e32 v4, v6, v5
	v_add_nc_u32_e32 v5, v12, v11
	v_cmp_lt_i32_e64 s11, v1, v58
	v_cmp_lt_i32_e64 s13, v2, v58
	s_and_b32 s38, s4, s3
	v_cmp_lt_i32_e64 s9, v4, v58
	v_cmp_lt_i32_e64 s2, v7, v58
	;; [unrolled: 1-line block ×3, first 2 shown]
	v_add_nc_u32_e32 v7, v16, v15
	v_add_nc_u32_e32 v8, v14, v13
	v_cmp_lt_i32_e64 s10, v5, v58
	v_cmp_lt_i32_e64 s12, v3, v58
	s_and_b32 s22, s9, s22
	s_and_b32 s11, s11, s23
	s_and_b32 s13, s13, vcc_lo
	v_cndmask_b32_e64 v1, 0, 4, s22
	v_cndmask_b32_e64 v2, 0, 2, s11
	;; [unrolled: 1-line block ×3, first 2 shown]
	v_cmp_lt_i32_e64 s7, v7, v58
	v_cmp_lt_i32_e64 s8, v8, v58
	s_and_b32 s9, s10, s25
	s_and_b32 s10, s12, s24
	v_cndmask_b32_e64 v4, 0, 16, s9
	v_cndmask_b32_e64 v5, 0, 8, s10
	v_or3_b32 v1, v2, v3, v1
	v_add_nc_u32_e32 v13, v44, v43
	v_add_nc_u32_e32 v14, v42, v41
	s_and_b32 s7, s7, s27
	s_and_b32 s8, s8, s26
	v_cndmask_b32_e64 v2, 0, 64, s7
	v_cndmask_b32_e64 v3, 0, 32, s8
	v_or3_b32 v1, v1, v5, v4
	v_add_nc_u32_e32 v47, v48, v47
	v_cmp_lt_i32_e32 vcc_lo, v13, v58
	v_add_nc_u32_e32 v45, v46, v45
	v_cmp_lt_i32_e64 s7, v14, v58
	s_and_b32 s6, s6, s28
	v_or3_b32 v44, v1, v3, v2
	v_cndmask_b32_e64 v4, 0, 0x80, s6
	v_cmp_lt_i32_e64 s4, v47, v58
	s_and_b32 s6, vcc_lo, s30
	v_cmp_lt_i32_e64 s5, v45, v58
	v_cndmask_b32_e64 v1, 0, 0x200, s6
	s_and_b32 s6, s7, s29
	v_or_b32_e32 v43, v4, v44
	v_cndmask_b32_e64 v2, 0, 0x100, s6
	s_and_b32 s4, s4, s33
	s_and_b32 s2, s2, s35
	v_cndmask_b32_e64 v3, 0, 0x800, s4
	s_and_b32 s4, s5, s31
	v_or3_b32 v42, v2, v1, v43
	v_cndmask_b32_e64 v4, 0, 0x400, s4
	v_cndmask_b32_e64 v1, 0, 0x2000, s2
	s_and_b32 s2, s3, s34
	s_and_b32 s1, s1, s36
	v_cndmask_b32_e64 v2, 0, 0x1000, s2
	v_or3_b32 v41, v4, v3, v42
	s_and_b32 s2, s38, s37
	v_cndmask_b32_e64 v4, 0, 0x4000, s1
	v_cndmask_b32_e64 v3, 0, 0x8000, s2
	v_mov_b32_e32 v10, 0
	v_or3_b32 v40, v2, v1, v41
	s_cmp_lg_u32 s20, 0
	s_barrier
	buffer_gl0_inv
	v_or3_b32 v39, v4, v3, v40
	v_bcnt_u32_b32 v9, v39, 0
	s_cbranch_scc0 .LBB25_189
; %bb.132:
	v_mbcnt_lo_u32_b32 v45, -1, 0
	v_mov_b32_e32 v1, v9
	v_mov_b32_dpp v7, v9 row_shr:1 row_mask:0xf bank_mask:0xf
	v_mov_b32_dpp v6, v10 row_shr:1 row_mask:0xf bank_mask:0xf
	v_mov_b32_e32 v4, v9
	v_and_b32_e32 v5, 15, v45
	v_mov_b32_e32 v3, v10
	v_mov_b32_e32 v2, v10
	s_mov_b32 s1, exec_lo
	v_cmpx_ne_u32_e32 0, v5
; %bb.133:
	v_add_co_u32 v4, s2, v7, v9
	v_add_co_ci_u32_e64 v1, null, 0, 0, s2
	v_add_co_u32 v2, vcc_lo, 0, v4
	v_add_co_ci_u32_e64 v3, null, v6, v1, vcc_lo
	v_mov_b32_e32 v1, v2
	v_mov_b32_e32 v2, v3
; %bb.134:
	s_or_b32 exec_lo, exec_lo, s1
	v_mov_b32_dpp v7, v4 row_shr:2 row_mask:0xf bank_mask:0xf
	v_mov_b32_dpp v6, v3 row_shr:2 row_mask:0xf bank_mask:0xf
	s_mov_b32 s1, exec_lo
	v_cmpx_lt_u32_e32 1, v5
; %bb.135:
	v_add_co_u32 v4, vcc_lo, v1, v7
	v_add_co_ci_u32_e64 v1, null, 0, v2, vcc_lo
	v_add_co_u32 v2, vcc_lo, 0, v4
	v_add_co_ci_u32_e64 v3, null, v6, v1, vcc_lo
	v_mov_b32_e32 v1, v2
	v_mov_b32_e32 v2, v3
; %bb.136:
	s_or_b32 exec_lo, exec_lo, s1
	v_mov_b32_dpp v7, v4 row_shr:4 row_mask:0xf bank_mask:0xf
	v_mov_b32_dpp v6, v3 row_shr:4 row_mask:0xf bank_mask:0xf
	s_mov_b32 s1, exec_lo
	v_cmpx_lt_u32_e32 3, v5
; %bb.137:
	v_add_co_u32 v4, vcc_lo, v1, v7
	v_add_co_ci_u32_e64 v1, null, 0, v2, vcc_lo
	;; [unrolled: 13-line block ×3, first 2 shown]
	v_add_co_u32 v1, vcc_lo, 0, v4
	v_add_co_ci_u32_e64 v2, null, v6, v2, vcc_lo
	v_mov_b32_e32 v3, v2
; %bb.140:
	s_or_b32 exec_lo, exec_lo, s1
	ds_swizzle_b32 v5, v4 offset:swizzle(BROADCAST,32,15)
	ds_swizzle_b32 v3, v3 offset:swizzle(BROADCAST,32,15)
	v_and_b32_e32 v6, 16, v45
	s_mov_b32 s1, exec_lo
	v_cmpx_ne_u32_e32 0, v6
	s_cbranch_execz .LBB25_142
; %bb.141:
	s_waitcnt lgkmcnt(1)
	v_add_co_u32 v4, vcc_lo, v1, v5
	v_add_co_ci_u32_e64 v2, null, 0, v2, vcc_lo
	v_add_co_u32 v1, vcc_lo, 0, v4
	s_waitcnt lgkmcnt(0)
	v_add_co_ci_u32_e64 v2, null, v3, v2, vcc_lo
.LBB25_142:
	s_or_b32 exec_lo, exec_lo, s1
	s_waitcnt lgkmcnt(0)
	v_or_b32_e32 v3, 31, v0
	v_lshrrev_b32_e32 v5, 5, v0
	v_cmp_eq_u32_e32 vcc_lo, v0, v3
	v_lshlrev_b32_e32 v3, 3, v5
	s_and_saveexec_b32 s1, vcc_lo
; %bb.143:
	ds_write_b64 v3, v[1:2] offset:18432
; %bb.144:
	s_or_b32 exec_lo, exec_lo, s1
	s_mov_b32 s1, exec_lo
	s_waitcnt lgkmcnt(0)
	s_barrier
	buffer_gl0_inv
	v_cmpx_gt_u32_e32 8, v0
	s_cbranch_execz .LBB25_152
; %bb.145:
	v_lshlrev_b32_e32 v6, 3, v0
	v_and_b32_e32 v5, 7, v45
	s_mov_b32 s2, exec_lo
	ds_read_b64 v[1:2], v6 offset:18432
	s_waitcnt lgkmcnt(0)
	v_mov_b32_dpp v11, v1 row_shr:1 row_mask:0xf bank_mask:0xf
	v_mov_b32_dpp v8, v2 row_shr:1 row_mask:0xf bank_mask:0xf
	v_mov_b32_e32 v7, v1
	v_cmpx_ne_u32_e32 0, v5
; %bb.146:
	v_add_co_u32 v7, vcc_lo, v1, v11
	v_add_co_ci_u32_e64 v2, null, 0, v2, vcc_lo
	v_add_co_u32 v1, vcc_lo, 0, v7
	v_add_co_ci_u32_e64 v2, null, v8, v2, vcc_lo
; %bb.147:
	s_or_b32 exec_lo, exec_lo, s2
	v_mov_b32_dpp v11, v7 row_shr:2 row_mask:0xf bank_mask:0xf
	v_mov_b32_dpp v8, v2 row_shr:2 row_mask:0xf bank_mask:0xf
	s_mov_b32 s2, exec_lo
	v_cmpx_lt_u32_e32 1, v5
; %bb.148:
	v_add_co_u32 v7, vcc_lo, v1, v11
	v_add_co_ci_u32_e64 v2, null, 0, v2, vcc_lo
	v_add_co_u32 v1, vcc_lo, 0, v7
	v_add_co_ci_u32_e64 v2, null, v8, v2, vcc_lo
; %bb.149:
	s_or_b32 exec_lo, exec_lo, s2
	v_or_b32_e32 v6, 0x4800, v6
	v_mov_b32_dpp v8, v7 row_shr:4 row_mask:0xf bank_mask:0xf
	v_mov_b32_dpp v7, v2 row_shr:4 row_mask:0xf bank_mask:0xf
	s_mov_b32 s2, exec_lo
	v_cmpx_lt_u32_e32 3, v5
; %bb.150:
	v_add_co_u32 v1, vcc_lo, v1, v8
	v_add_co_ci_u32_e64 v2, null, 0, v2, vcc_lo
	v_add_co_u32 v1, vcc_lo, v1, 0
	v_add_co_ci_u32_e64 v2, null, v2, v7, vcc_lo
; %bb.151:
	s_or_b32 exec_lo, exec_lo, s2
	ds_write_b64 v6, v[1:2]
.LBB25_152:
	s_or_b32 exec_lo, exec_lo, s1
	s_mov_b32 s2, exec_lo
	v_cmp_gt_u32_e32 vcc_lo, 32, v0
	s_waitcnt lgkmcnt(0)
	s_barrier
	buffer_gl0_inv
                                        ; implicit-def: $vgpr11_vgpr12
	v_cmpx_lt_u32_e32 31, v0
	s_cbranch_execz .LBB25_154
; %bb.153:
	ds_read_b64 v[11:12], v3 offset:18424
	s_waitcnt lgkmcnt(0)
	v_add_nc_u32_e32 v4, v4, v11
.LBB25_154:
	s_or_b32 exec_lo, exec_lo, s2
	v_sub_co_u32 v1, s1, v45, 1
	v_cmp_gt_i32_e64 s2, 0, v1
	v_cndmask_b32_e64 v1, v1, v45, s2
	v_lshlrev_b32_e32 v1, 2, v1
	ds_bpermute_b32 v46, v1, v4
	s_and_saveexec_b32 s2, vcc_lo
	s_cbranch_execz .LBB25_194
; %bb.155:
	v_mov_b32_e32 v4, 0
	ds_read_b64 v[1:2], v4 offset:18488
	s_and_saveexec_b32 s3, s1
	s_cbranch_execz .LBB25_157
; %bb.156:
	s_add_i32 s4, s20, 32
	s_mov_b32 s5, 0
	v_mov_b32_e32 v3, 1
	s_lshl_b64 s[4:5], s[4:5], 4
	s_add_u32 s4, s16, s4
	s_addc_u32 s5, s17, s5
	v_mov_b32_e32 v6, s5
	v_mov_b32_e32 v5, s4
	s_waitcnt lgkmcnt(0)
	;;#ASMSTART
	global_store_dwordx4 v[5:6], v[1:4] off	
s_waitcnt vmcnt(0)
	;;#ASMEND
.LBB25_157:
	s_or_b32 exec_lo, exec_lo, s3
	v_xad_u32 v13, v45, -1, s20
	s_mov_b32 s4, 0
	v_add_nc_u32_e32 v3, 32, v13
	v_lshlrev_b64 v[5:6], 4, v[3:4]
	v_add_co_u32 v14, vcc_lo, s16, v5
	v_add_co_ci_u32_e64 v15, null, s17, v6, vcc_lo
	;;#ASMSTART
	global_load_dwordx4 v[5:8], v[14:15] off glc dlc	
s_waitcnt vmcnt(0)
	;;#ASMEND
	v_cmp_eq_u16_sdwa s5, v7, v4 src0_sel:BYTE_0 src1_sel:DWORD
	s_and_saveexec_b32 s3, s5
	s_cbranch_execz .LBB25_161
; %bb.158:
	v_mov_b32_e32 v3, 0
.LBB25_159:                             ; =>This Inner Loop Header: Depth=1
	;;#ASMSTART
	global_load_dwordx4 v[5:8], v[14:15] off glc dlc	
s_waitcnt vmcnt(0)
	;;#ASMEND
	v_cmp_ne_u16_sdwa s5, v7, v3 src0_sel:BYTE_0 src1_sel:DWORD
	s_or_b32 s4, s5, s4
	s_andn2_b32 exec_lo, exec_lo, s4
	s_cbranch_execnz .LBB25_159
; %bb.160:
	s_or_b32 exec_lo, exec_lo, s4
.LBB25_161:
	s_or_b32 exec_lo, exec_lo, s3
	v_cmp_ne_u32_e32 vcc_lo, 31, v45
	v_mov_b32_e32 v4, 2
	v_lshlrev_b32_e64 v48, v45, -1
	v_add_co_ci_u32_e64 v3, null, 0, v45, vcc_lo
	v_cmp_eq_u16_sdwa s3, v7, v4 src0_sel:BYTE_0 src1_sel:DWORD
	v_mov_b32_e32 v4, v5
	v_lshlrev_b32_e32 v47, 2, v3
	v_and_or_b32 v3, s3, v48, 0x80000000
	s_mov_b32 s3, exec_lo
	ds_bpermute_b32 v14, v47, v5
	ds_bpermute_b32 v8, v47, v6
	v_ffbl_b32_e32 v3, v3
	v_cmpx_lt_u32_e64 v45, v3
	s_cbranch_execz .LBB25_163
; %bb.162:
	s_waitcnt lgkmcnt(1)
	v_add_co_u32 v4, vcc_lo, v5, v14
	v_add_co_ci_u32_e64 v6, null, 0, v6, vcc_lo
	v_add_co_u32 v5, vcc_lo, 0, v4
	s_waitcnt lgkmcnt(0)
	v_add_co_ci_u32_e64 v6, null, v8, v6, vcc_lo
.LBB25_163:
	s_or_b32 exec_lo, exec_lo, s3
	v_cmp_gt_u32_e32 vcc_lo, 30, v45
	v_add_nc_u32_e32 v50, 2, v45
	s_mov_b32 s3, exec_lo
	s_waitcnt lgkmcnt(0)
	v_cndmask_b32_e64 v8, 0, 2, vcc_lo
	v_add_lshl_u32 v49, v8, v45, 2
	ds_bpermute_b32 v14, v49, v4
	ds_bpermute_b32 v8, v49, v6
	v_cmpx_le_u32_e64 v50, v3
	s_cbranch_execz .LBB25_165
; %bb.164:
	s_waitcnt lgkmcnt(1)
	v_add_co_u32 v4, vcc_lo, v5, v14
	v_add_co_ci_u32_e64 v6, null, 0, v6, vcc_lo
	v_add_co_u32 v5, vcc_lo, 0, v4
	s_waitcnt lgkmcnt(0)
	v_add_co_ci_u32_e64 v6, null, v8, v6, vcc_lo
.LBB25_165:
	s_or_b32 exec_lo, exec_lo, s3
	v_cmp_gt_u32_e32 vcc_lo, 28, v45
	v_add_nc_u32_e32 v52, 4, v45
	s_mov_b32 s3, exec_lo
	s_waitcnt lgkmcnt(0)
	v_cndmask_b32_e64 v8, 0, 4, vcc_lo
	v_add_lshl_u32 v51, v8, v45, 2
	ds_bpermute_b32 v14, v51, v4
	ds_bpermute_b32 v8, v51, v6
	v_cmpx_le_u32_e64 v52, v3
	;; [unrolled: 19-line block ×3, first 2 shown]
	s_cbranch_execz .LBB25_169
; %bb.168:
	s_waitcnt lgkmcnt(1)
	v_add_co_u32 v4, vcc_lo, v5, v14
	v_add_co_ci_u32_e64 v6, null, 0, v6, vcc_lo
	v_add_co_u32 v5, vcc_lo, 0, v4
	s_waitcnt lgkmcnt(0)
	v_add_co_ci_u32_e64 v6, null, v8, v6, vcc_lo
.LBB25_169:
	s_or_b32 exec_lo, exec_lo, s3
	v_lshl_or_b32 v55, v45, 2, 64
	v_add_nc_u32_e32 v56, 16, v45
	s_mov_b32 s3, exec_lo
	s_waitcnt lgkmcnt(0)
	ds_bpermute_b32 v8, v55, v4
	ds_bpermute_b32 v4, v55, v6
	v_cmpx_le_u32_e64 v56, v3
	s_cbranch_execz .LBB25_171
; %bb.170:
	s_waitcnt lgkmcnt(1)
	v_add_co_u32 v3, vcc_lo, v5, v8
	v_add_co_ci_u32_e64 v6, null, 0, v6, vcc_lo
	v_add_co_u32 v5, vcc_lo, v3, 0
	s_waitcnt lgkmcnt(0)
	v_add_co_ci_u32_e64 v6, null, v6, v4, vcc_lo
.LBB25_171:
	s_or_b32 exec_lo, exec_lo, s3
	v_mov_b32_e32 v14, 0
	v_mov_b32_e32 v57, 2
	s_branch .LBB25_174
.LBB25_172:                             ;   in Loop: Header=BB25_174 Depth=1
	s_or_b32 exec_lo, exec_lo, s3
	v_add_co_u32 v5, vcc_lo, v5, v3
	v_subrev_nc_u32_e32 v13, 32, v13
	v_add_co_ci_u32_e64 v6, null, v6, v4, vcc_lo
	s_mov_b32 s3, 0
.LBB25_173:                             ;   in Loop: Header=BB25_174 Depth=1
	s_and_b32 vcc_lo, exec_lo, s3
	s_cbranch_vccnz .LBB25_190
.LBB25_174:                             ; =>This Loop Header: Depth=1
                                        ;     Child Loop BB25_177 Depth 2
	v_cmp_ne_u16_sdwa s3, v7, v57 src0_sel:BYTE_0 src1_sel:DWORD
	s_waitcnt lgkmcnt(0)
	v_mov_b32_e32 v3, v5
	v_mov_b32_e32 v4, v6
                                        ; implicit-def: $vgpr5_vgpr6
	s_cmp_lg_u32 s3, exec_lo
	s_mov_b32 s3, -1
	s_cbranch_scc1 .LBB25_173
; %bb.175:                              ;   in Loop: Header=BB25_174 Depth=1
	v_lshlrev_b64 v[5:6], 4, v[13:14]
	v_add_co_u32 v15, vcc_lo, s16, v5
	v_add_co_ci_u32_e64 v16, null, s17, v6, vcc_lo
	;;#ASMSTART
	global_load_dwordx4 v[5:8], v[15:16] off glc dlc	
s_waitcnt vmcnt(0)
	;;#ASMEND
	v_cmp_eq_u16_sdwa s4, v7, v14 src0_sel:BYTE_0 src1_sel:DWORD
	s_and_saveexec_b32 s3, s4
	s_cbranch_execz .LBB25_179
; %bb.176:                              ;   in Loop: Header=BB25_174 Depth=1
	s_mov_b32 s4, 0
.LBB25_177:                             ;   Parent Loop BB25_174 Depth=1
                                        ; =>  This Inner Loop Header: Depth=2
	;;#ASMSTART
	global_load_dwordx4 v[5:8], v[15:16] off glc dlc	
s_waitcnt vmcnt(0)
	;;#ASMEND
	v_cmp_ne_u16_sdwa s5, v7, v14 src0_sel:BYTE_0 src1_sel:DWORD
	s_or_b32 s4, s5, s4
	s_andn2_b32 exec_lo, exec_lo, s4
	s_cbranch_execnz .LBB25_177
; %bb.178:                              ;   in Loop: Header=BB25_174 Depth=1
	s_or_b32 exec_lo, exec_lo, s4
.LBB25_179:                             ;   in Loop: Header=BB25_174 Depth=1
	s_or_b32 exec_lo, exec_lo, s3
	ds_bpermute_b32 v58, v47, v5
	ds_bpermute_b32 v16, v47, v6
	v_cmp_eq_u16_sdwa s3, v7, v57 src0_sel:BYTE_0 src1_sel:DWORD
	v_mov_b32_e32 v15, v5
	v_and_or_b32 v8, s3, v48, 0x80000000
	s_mov_b32 s3, exec_lo
	v_ffbl_b32_e32 v8, v8
	v_cmpx_lt_u32_e64 v45, v8
	s_cbranch_execz .LBB25_181
; %bb.180:                              ;   in Loop: Header=BB25_174 Depth=1
	s_waitcnt lgkmcnt(1)
	v_add_co_u32 v15, vcc_lo, v5, v58
	v_add_co_ci_u32_e64 v6, null, 0, v6, vcc_lo
	v_add_co_u32 v5, vcc_lo, 0, v15
	s_waitcnt lgkmcnt(0)
	v_add_co_ci_u32_e64 v6, null, v16, v6, vcc_lo
.LBB25_181:                             ;   in Loop: Header=BB25_174 Depth=1
	s_or_b32 exec_lo, exec_lo, s3
	s_waitcnt lgkmcnt(1)
	ds_bpermute_b32 v58, v49, v15
	s_waitcnt lgkmcnt(1)
	ds_bpermute_b32 v16, v49, v6
	s_mov_b32 s3, exec_lo
	v_cmpx_le_u32_e64 v50, v8
	s_cbranch_execz .LBB25_183
; %bb.182:                              ;   in Loop: Header=BB25_174 Depth=1
	s_waitcnt lgkmcnt(1)
	v_add_co_u32 v15, vcc_lo, v5, v58
	v_add_co_ci_u32_e64 v6, null, 0, v6, vcc_lo
	v_add_co_u32 v5, vcc_lo, 0, v15
	s_waitcnt lgkmcnt(0)
	v_add_co_ci_u32_e64 v6, null, v16, v6, vcc_lo
.LBB25_183:                             ;   in Loop: Header=BB25_174 Depth=1
	s_or_b32 exec_lo, exec_lo, s3
	s_waitcnt lgkmcnt(1)
	ds_bpermute_b32 v58, v51, v15
	s_waitcnt lgkmcnt(1)
	ds_bpermute_b32 v16, v51, v6
	s_mov_b32 s3, exec_lo
	v_cmpx_le_u32_e64 v52, v8
	s_cbranch_execz .LBB25_185
; %bb.184:                              ;   in Loop: Header=BB25_174 Depth=1
	s_waitcnt lgkmcnt(1)
	v_add_co_u32 v15, vcc_lo, v5, v58
	v_add_co_ci_u32_e64 v6, null, 0, v6, vcc_lo
	v_add_co_u32 v5, vcc_lo, 0, v15
	s_waitcnt lgkmcnt(0)
	v_add_co_ci_u32_e64 v6, null, v16, v6, vcc_lo
.LBB25_185:                             ;   in Loop: Header=BB25_174 Depth=1
	s_or_b32 exec_lo, exec_lo, s3
	s_waitcnt lgkmcnt(1)
	ds_bpermute_b32 v58, v53, v15
	s_waitcnt lgkmcnt(1)
	ds_bpermute_b32 v16, v53, v6
	s_mov_b32 s3, exec_lo
	v_cmpx_le_u32_e64 v54, v8
	s_cbranch_execz .LBB25_187
; %bb.186:                              ;   in Loop: Header=BB25_174 Depth=1
	s_waitcnt lgkmcnt(1)
	v_add_co_u32 v15, vcc_lo, v5, v58
	v_add_co_ci_u32_e64 v6, null, 0, v6, vcc_lo
	v_add_co_u32 v5, vcc_lo, 0, v15
	s_waitcnt lgkmcnt(0)
	v_add_co_ci_u32_e64 v6, null, v16, v6, vcc_lo
.LBB25_187:                             ;   in Loop: Header=BB25_174 Depth=1
	s_or_b32 exec_lo, exec_lo, s3
	s_waitcnt lgkmcnt(0)
	ds_bpermute_b32 v16, v55, v15
	ds_bpermute_b32 v15, v55, v6
	s_mov_b32 s3, exec_lo
	v_cmpx_le_u32_e64 v56, v8
	s_cbranch_execz .LBB25_172
; %bb.188:                              ;   in Loop: Header=BB25_174 Depth=1
	s_waitcnt lgkmcnt(1)
	v_add_co_u32 v5, vcc_lo, v5, v16
	v_add_co_ci_u32_e64 v6, null, 0, v6, vcc_lo
	v_add_co_u32 v5, vcc_lo, v5, 0
	s_waitcnt lgkmcnt(0)
	v_add_co_ci_u32_e64 v6, null, v6, v15, vcc_lo
	s_branch .LBB25_172
.LBB25_189:
                                        ; implicit-def: $vgpr1_vgpr2
                                        ; implicit-def: $vgpr5_vgpr6
	s_movk_i32 s1, 0x4840
	s_cbranch_execnz .LBB25_195
	s_branch .LBB25_218
.LBB25_190:
	s_and_saveexec_b32 s3, s1
	s_cbranch_execz .LBB25_192
; %bb.191:
	s_add_i32 s4, s20, 32
	s_mov_b32 s5, 0
	v_add_co_u32 v5, vcc_lo, v3, v1
	s_lshl_b64 s[4:5], s[4:5], 4
	v_mov_b32_e32 v8, 0
	s_add_u32 s4, s16, s4
	s_addc_u32 s5, s17, s5
	v_add_co_ci_u32_e64 v6, null, v4, v2, vcc_lo
	v_mov_b32_e32 v14, s5
	v_mov_b32_e32 v7, 2
	;; [unrolled: 1-line block ×3, first 2 shown]
	;;#ASMSTART
	global_store_dwordx4 v[13:14], v[5:8] off	
s_waitcnt vmcnt(0)
	;;#ASMEND
	ds_write_b128 v8, v[1:4] offset:18496
.LBB25_192:
	s_or_b32 exec_lo, exec_lo, s3
	s_and_b32 exec_lo, exec_lo, s0
; %bb.193:
	v_mov_b32_e32 v1, 0
	ds_write_b64 v1, v[3:4] offset:18488
.LBB25_194:
	s_or_b32 exec_lo, exec_lo, s2
	v_mov_b32_e32 v1, 0
	s_waitcnt lgkmcnt(0)
	s_barrier
	buffer_gl0_inv
	v_cndmask_b32_e64 v5, v46, v11, s1
	ds_read_b64 v[3:4], v1 offset:18488
	s_waitcnt lgkmcnt(0)
	s_barrier
	buffer_gl0_inv
	ds_read_b64 v[1:2], v1 offset:18504
	v_cndmask_b32_e64 v6, 0, v12, s1
	v_cndmask_b32_e64 v5, v5, 0, s0
	;; [unrolled: 1-line block ×3, first 2 shown]
	v_add_co_u32 v5, vcc_lo, v3, v5
	v_add_co_ci_u32_e64 v3, null, v4, v6, vcc_lo
	s_movk_i32 s1, 0x4840
	s_branch .LBB25_218
.LBB25_195:
	v_mbcnt_lo_u32_b32 v5, -1, 0
	v_mov_b32_e32 v3, 0
	s_waitcnt lgkmcnt(0)
	v_mov_b32_e32 v1, v9
	v_mov_b32_dpp v7, v9 row_shr:1 row_mask:0xf bank_mask:0xf
	v_mov_b32_e32 v2, v10
	v_and_b32_e32 v4, 15, v5
	v_mov_b32_dpp v6, v3 row_shr:1 row_mask:0xf bank_mask:0xf
	s_mov_b32 s1, exec_lo
	v_cmpx_ne_u32_e32 0, v4
; %bb.196:
	v_add_co_u32 v9, s2, v7, v9
	v_add_co_ci_u32_e64 v1, null, 0, 0, s2
	v_add_co_u32 v2, vcc_lo, 0, v9
	v_add_co_ci_u32_e64 v3, null, v6, v1, vcc_lo
	v_mov_b32_e32 v1, v2
	v_mov_b32_e32 v2, v3
; %bb.197:
	s_or_b32 exec_lo, exec_lo, s1
	v_mov_b32_dpp v7, v9 row_shr:2 row_mask:0xf bank_mask:0xf
	v_mov_b32_dpp v6, v3 row_shr:2 row_mask:0xf bank_mask:0xf
	s_mov_b32 s1, exec_lo
	v_cmpx_lt_u32_e32 1, v4
; %bb.198:
	v_add_co_u32 v9, vcc_lo, v1, v7
	v_add_co_ci_u32_e64 v1, null, 0, v2, vcc_lo
	v_add_co_u32 v2, vcc_lo, 0, v9
	v_add_co_ci_u32_e64 v3, null, v6, v1, vcc_lo
	v_mov_b32_e32 v1, v2
	v_mov_b32_e32 v2, v3
; %bb.199:
	s_or_b32 exec_lo, exec_lo, s1
	v_mov_b32_dpp v7, v9 row_shr:4 row_mask:0xf bank_mask:0xf
	v_mov_b32_dpp v6, v3 row_shr:4 row_mask:0xf bank_mask:0xf
	s_mov_b32 s1, exec_lo
	v_cmpx_lt_u32_e32 3, v4
; %bb.200:
	v_add_co_u32 v9, vcc_lo, v1, v7
	v_add_co_ci_u32_e64 v1, null, 0, v2, vcc_lo
	;; [unrolled: 13-line block ×3, first 2 shown]
	v_add_co_u32 v1, vcc_lo, 0, v9
	v_add_co_ci_u32_e64 v2, null, v6, v2, vcc_lo
	v_mov_b32_e32 v3, v2
; %bb.203:
	s_or_b32 exec_lo, exec_lo, s1
	ds_swizzle_b32 v4, v9 offset:swizzle(BROADCAST,32,15)
	ds_swizzle_b32 v3, v3 offset:swizzle(BROADCAST,32,15)
	v_and_b32_e32 v6, 16, v5
	s_mov_b32 s1, exec_lo
	v_cmpx_ne_u32_e32 0, v6
	s_cbranch_execz .LBB25_205
; %bb.204:
	s_waitcnt lgkmcnt(1)
	v_add_co_u32 v9, vcc_lo, v1, v4
	v_add_co_ci_u32_e64 v2, null, 0, v2, vcc_lo
	v_add_co_u32 v1, vcc_lo, 0, v9
	s_waitcnt lgkmcnt(0)
	v_add_co_ci_u32_e64 v2, null, v3, v2, vcc_lo
.LBB25_205:
	s_or_b32 exec_lo, exec_lo, s1
	s_waitcnt lgkmcnt(1)
	v_lshrrev_b32_e32 v4, 5, v0
	s_waitcnt lgkmcnt(0)
	v_or_b32_e32 v3, 31, v0
	s_mov_b32 s1, exec_lo
	v_lshlrev_b32_e32 v6, 3, v4
	v_cmpx_eq_u32_e64 v0, v3
; %bb.206:
	ds_write_b64 v6, v[1:2] offset:18432
; %bb.207:
	s_or_b32 exec_lo, exec_lo, s1
	s_mov_b32 s1, exec_lo
	s_waitcnt lgkmcnt(0)
	s_barrier
	buffer_gl0_inv
	v_cmpx_gt_u32_e32 8, v0
	s_cbranch_execz .LBB25_215
; %bb.208:
	v_lshlrev_b32_e32 v4, 3, v0
	v_and_b32_e32 v3, 7, v5
	s_mov_b32 s2, exec_lo
	ds_read_b64 v[1:2], v4 offset:18432
	s_waitcnt lgkmcnt(0)
	v_mov_b32_dpp v10, v1 row_shr:1 row_mask:0xf bank_mask:0xf
	v_mov_b32_dpp v8, v2 row_shr:1 row_mask:0xf bank_mask:0xf
	v_mov_b32_e32 v7, v1
	v_cmpx_ne_u32_e32 0, v3
; %bb.209:
	v_add_co_u32 v7, vcc_lo, v1, v10
	v_add_co_ci_u32_e64 v2, null, 0, v2, vcc_lo
	v_add_co_u32 v1, vcc_lo, 0, v7
	v_add_co_ci_u32_e64 v2, null, v8, v2, vcc_lo
; %bb.210:
	s_or_b32 exec_lo, exec_lo, s2
	v_mov_b32_dpp v10, v7 row_shr:2 row_mask:0xf bank_mask:0xf
	v_mov_b32_dpp v8, v2 row_shr:2 row_mask:0xf bank_mask:0xf
	s_mov_b32 s2, exec_lo
	v_cmpx_lt_u32_e32 1, v3
; %bb.211:
	v_add_co_u32 v7, vcc_lo, v1, v10
	v_add_co_ci_u32_e64 v2, null, 0, v2, vcc_lo
	v_add_co_u32 v1, vcc_lo, 0, v7
	v_add_co_ci_u32_e64 v2, null, v8, v2, vcc_lo
; %bb.212:
	s_or_b32 exec_lo, exec_lo, s2
	v_or_b32_e32 v4, 0x4800, v4
	v_mov_b32_dpp v8, v7 row_shr:4 row_mask:0xf bank_mask:0xf
	v_mov_b32_dpp v7, v2 row_shr:4 row_mask:0xf bank_mask:0xf
	s_mov_b32 s2, exec_lo
	v_cmpx_lt_u32_e32 3, v3
; %bb.213:
	v_add_co_u32 v1, vcc_lo, v1, v8
	v_add_co_ci_u32_e64 v2, null, 0, v2, vcc_lo
	v_add_co_u32 v1, vcc_lo, v1, 0
	v_add_co_ci_u32_e64 v2, null, v2, v7, vcc_lo
; %bb.214:
	s_or_b32 exec_lo, exec_lo, s2
	ds_write_b64 v4, v[1:2]
.LBB25_215:
	s_or_b32 exec_lo, exec_lo, s1
	v_mov_b32_e32 v1, 0
	v_mov_b32_e32 v2, 0
	s_mov_b32 s1, exec_lo
	v_mov_b32_e32 v3, 0
	v_mov_b32_e32 v4, 0
	s_waitcnt lgkmcnt(0)
	s_barrier
	buffer_gl0_inv
	v_cmpx_lt_u32_e32 31, v0
; %bb.216:
	ds_read_b64 v[3:4], v6 offset:18424
; %bb.217:
	s_or_b32 exec_lo, exec_lo, s1
	s_waitcnt lgkmcnt(0)
	v_sub_co_u32 v4, vcc_lo, v5, 1
	v_cmp_gt_i32_e64 s1, 0, v4
	v_cndmask_b32_e64 v4, v4, v5, s1
	v_add_nc_u32_e32 v5, v9, v3
	s_movk_i32 s1, 0x4838
	v_lshlrev_b32_e32 v4, 2, v4
	ds_bpermute_b32 v4, v4, v5
	s_waitcnt lgkmcnt(0)
	v_cndmask_b32_e32 v5, v4, v3, vcc_lo
.LBB25_218:
	v_mov_b32_e32 v3, s1
	s_waitcnt lgkmcnt(0)
	v_sub_nc_u32_e32 v5, v5, v1
	ds_read_b64 v[3:4], v3
	s_waitcnt lgkmcnt(0)
	s_barrier
	buffer_gl0_inv
	s_and_saveexec_b32 s1, s13
	s_cbranch_execnz .LBB25_264
; %bb.219:
	s_or_b32 exec_lo, exec_lo, s1
	s_and_saveexec_b32 s1, s11
	s_cbranch_execnz .LBB25_265
.LBB25_220:
	s_or_b32 exec_lo, exec_lo, s1
	s_and_saveexec_b32 s1, s22
	s_cbranch_execnz .LBB25_266
.LBB25_221:
	s_or_b32 exec_lo, exec_lo, s1
	s_and_saveexec_b32 s1, s10
	s_cbranch_execnz .LBB25_267
.LBB25_222:
	s_or_b32 exec_lo, exec_lo, s1
	s_and_saveexec_b32 s1, s9
	s_cbranch_execnz .LBB25_268
.LBB25_223:
	s_or_b32 exec_lo, exec_lo, s1
	s_and_saveexec_b32 s1, s8
.LBB25_224:
	v_lshlrev_b32_e32 v6, 2, v5
	v_add_nc_u32_e32 v5, 1, v5
	ds_write_b32 v6, v28 offset:19456
.LBB25_225:
	s_or_b32 exec_lo, exec_lo, s1
	v_and_b32_e32 v6, 64, v44
	s_mov_b32 s1, exec_lo
	v_cmpx_ne_u32_e32 0, v6
; %bb.226:
	v_lshlrev_b32_e32 v6, 2, v5
	v_add_nc_u32_e32 v5, 1, v5
	ds_write_b32 v6, v29 offset:19456
; %bb.227:
	s_or_b32 exec_lo, exec_lo, s1
	v_and_b32_e32 v6, 0x80, v43
	s_mov_b32 s1, exec_lo
	v_cmpx_ne_u32_e32 0, v6
; %bb.228:
	v_lshlrev_b32_e32 v6, 2, v5
	v_add_nc_u32_e32 v5, 1, v5
	ds_write_b32 v6, v30 offset:19456
; %bb.229:
	;; [unrolled: 9-line block ×9, first 2 shown]
	s_or_b32 exec_lo, exec_lo, s1
	v_and_b32_e32 v6, 0x8000, v39
	s_mov_b32 s1, exec_lo
	v_cmpx_ne_u32_e32 0, v6
; %bb.244:
	v_lshlrev_b32_e32 v5, 2, v5
	ds_write_b32 v5, v38 offset:19456
; %bb.245:
	s_or_b32 exec_lo, exec_lo, s1
	s_mov_b32 s2, exec_lo
	s_waitcnt lgkmcnt(0)
	s_barrier
	buffer_gl0_inv
	v_cmpx_lt_i32_e64 v0, v3
	s_cbranch_execz .LBB25_248
; %bb.246:
	v_lshlrev_b64 v[5:6], 2, v[1:2]
	v_or_b32_e32 v7, 0x4c00, v22
	v_mov_b32_e32 v8, v0
	s_mov_b32 s3, 0
	v_add_co_u32 v5, vcc_lo, s18, v5
	v_add_co_ci_u32_e64 v6, null, s19, v6, vcc_lo
	v_add_co_u32 v5, vcc_lo, v5, v22
	v_add_co_ci_u32_e64 v6, null, 0, v6, vcc_lo
	.p2align	6
.LBB25_247:                             ; =>This Inner Loop Header: Depth=1
	ds_read_b32 v9, v7
	v_add_nc_u32_e32 v8, 0x100, v8
	v_add_nc_u32_e32 v7, 0x400, v7
	v_cmp_ge_i32_e32 vcc_lo, v8, v3
	s_or_b32 s3, vcc_lo, s3
	s_waitcnt lgkmcnt(0)
	global_store_dword v[5:6], v9, off
	v_add_co_u32 v5, s1, 0x400, v5
	v_add_co_ci_u32_e64 v6, null, 0, v6, s1
	s_andn2_b32 exec_lo, exec_lo, s3
	s_cbranch_execnz .LBB25_247
.LBB25_248:
	s_or_b32 exec_lo, exec_lo, s2
	s_and_saveexec_b32 s1, s0
	s_cbranch_execz .LBB25_250
; %bb.249:
	v_add_co_u32 v1, vcc_lo, v3, v1
	v_mov_b32_e32 v5, 0
	v_add_co_ci_u32_e64 v2, null, v4, v2, vcc_lo
	global_store_dwordx2 v5, v[1:2], s[14:15]
.LBB25_250:
	s_or_b32 exec_lo, exec_lo, s1
	s_mov_b32 s0, 0
.LBB25_251:
	s_and_b32 vcc_lo, exec_lo, s0
	s_cbranch_vccz .LBB25_472
; %bb.252:
	v_mov_b32_e32 v1, 0
	v_subrev_nc_u32_e32 v2, s21, v0
	v_lshlrev_b32_e32 v4, 2, v0
	v_or_b32_e32 v11, 0x100, v0
	v_or_b32_e32 v12, 0x200, v0
	v_mov_b32_e32 v3, v1
	v_mov_b32_e32 v8, v1
	v_or_b32_e32 v23, 0x300, v0
	v_subrev_nc_u32_e32 v7, s21, v11
	v_or_b32_e32 v24, 0x500, v0
	v_lshlrev_b64 v[5:6], 2, v[2:3]
	v_add_co_u32 v2, vcc_lo, v20, v4
	v_add_co_ci_u32_e64 v3, null, 0, v21, vcc_lo
	v_or_b32_e32 v28, 0x800, v0
	v_add_co_u32 v9, vcc_lo, v18, v5
	v_add_co_ci_u32_e64 v10, null, v19, v6, vcc_lo
	v_cmp_gt_i32_e32 vcc_lo, s21, v0
	v_lshlrev_b64 v[5:6], 2, v[7:8]
	v_or_b32_e32 v29, 0xa00, v0
	v_cndmask_b32_e32 v8, v10, v3, vcc_lo
	v_cndmask_b32_e32 v7, v9, v2, vcc_lo
	v_subrev_nc_u32_e32 v9, s21, v12
	v_mov_b32_e32 v10, v1
	v_add_co_u32 v13, vcc_lo, 0x400, v2
	v_add_co_ci_u32_e64 v14, null, 0, v3, vcc_lo
	v_add_co_u32 v15, vcc_lo, v18, v5
	v_add_co_ci_u32_e64 v16, null, v19, v6, vcc_lo
	v_lshlrev_b64 v[5:6], 2, v[9:10]
	v_cmp_gt_i32_e32 vcc_lo, s21, v11
	v_add_co_u32 v11, s0, 0x800, v2
	v_add_co_ci_u32_e64 v22, null, 0, v3, s0
	v_add_co_u32 v5, s0, v18, v5
	v_add_co_ci_u32_e64 v6, null, v19, v6, s0
	v_cmp_gt_i32_e64 s0, s21, v12
	v_cndmask_b32_e32 v10, v16, v14, vcc_lo
	v_cndmask_b32_e32 v9, v15, v13, vcc_lo
	v_subrev_nc_u32_e32 v13, s21, v23
	v_mov_b32_e32 v14, v1
	v_cndmask_b32_e64 v12, v6, v22, s0
	v_cndmask_b32_e64 v11, v5, v11, s0
	global_load_dword v6, v[7:8], off
	global_load_dword v7, v[9:10], off
	global_load_dword v5, v[11:12], off
	v_or_b32_e32 v12, 0x400, v0
	v_lshlrev_b64 v[8:9], 2, v[13:14]
	v_mov_b32_e32 v11, v1
	v_add_co_u32 v13, vcc_lo, 0xc00, v2
	v_subrev_nc_u32_e32 v10, s21, v12
	v_add_co_ci_u32_e64 v14, null, 0, v3, vcc_lo
	v_add_co_u32 v16, vcc_lo, v18, v8
	v_lshlrev_b32_e32 v15, 2, v12
	v_add_co_ci_u32_e64 v22, null, v19, v9, vcc_lo
	v_lshlrev_b64 v[8:9], 2, v[10:11]
	v_cmp_gt_i32_e32 vcc_lo, s21, v23
	v_add_co_u32 v15, s0, v20, v15
	v_add_co_ci_u32_e64 v23, null, 0, v21, s0
	v_add_co_u32 v25, s0, v18, v8
	v_add_co_ci_u32_e64 v26, null, v19, v9, s0
	v_subrev_nc_u32_e32 v8, s21, v24
	v_mov_b32_e32 v9, v1
	v_cmp_gt_i32_e64 s0, s21, v12
	v_cndmask_b32_e32 v11, v22, v14, vcc_lo
	v_cndmask_b32_e32 v10, v16, v13, vcc_lo
	v_add_co_u32 v16, vcc_lo, 0x1400, v2
	v_lshlrev_b64 v[8:9], 2, v[8:9]
	v_cndmask_b32_e64 v13, v26, v23, s0
	v_or_b32_e32 v23, 0x600, v0
	v_cndmask_b32_e64 v12, v25, v15, s0
	v_add_co_ci_u32_e64 v22, null, 0, v3, vcc_lo
	v_add_co_u32 v25, vcc_lo, v18, v8
	v_add_co_ci_u32_e64 v26, null, v19, v9, vcc_lo
	v_cmp_gt_i32_e32 vcc_lo, s21, v24
	v_subrev_nc_u32_e32 v14, s21, v23
	v_mov_b32_e32 v15, v1
	global_load_dword v8, v[10:11], off
	global_load_dword v9, v[12:13], off
	v_cndmask_b32_e32 v10, v25, v16, vcc_lo
	v_or_b32_e32 v16, 0x700, v0
	v_lshlrev_b64 v[12:13], 2, v[14:15]
	v_cndmask_b32_e32 v11, v26, v22, vcc_lo
	v_add_co_u32 v22, vcc_lo, 0x1800, v2
	v_subrev_nc_u32_e32 v14, s21, v16
	v_add_co_ci_u32_e64 v24, null, 0, v3, vcc_lo
	v_add_co_u32 v25, vcc_lo, v18, v12
	v_add_co_ci_u32_e64 v26, null, v19, v13, vcc_lo
	v_lshlrev_b64 v[12:13], 2, v[14:15]
	v_add_co_u32 v14, s0, 0x1c00, v2
	v_cmp_gt_i32_e32 vcc_lo, s21, v23
	v_add_co_ci_u32_e64 v15, null, 0, v3, s0
	v_add_co_u32 v23, s0, v18, v12
	v_add_co_ci_u32_e64 v27, null, v19, v13, s0
	v_cmp_gt_i32_e64 s0, s21, v16
	v_cndmask_b32_e32 v12, v25, v22, vcc_lo
	v_subrev_nc_u32_e32 v22, s21, v28
	v_cndmask_b32_e32 v13, v26, v24, vcc_lo
	global_load_dword v10, v[10:11], off
	global_load_dword v11, v[12:13], off
	v_cndmask_b32_e64 v15, v27, v15, s0
	v_cndmask_b32_e64 v14, v23, v14, s0
	v_mov_b32_e32 v23, v1
	v_lshlrev_b32_e32 v16, 2, v28
	v_add_co_u32 v27, s0, 0x2400, v2
	global_load_dword v12, v[14:15], off
	v_lshlrev_b64 v[13:14], 2, v[22:23]
	v_or_b32_e32 v22, 0x900, v0
	v_add_co_u32 v23, vcc_lo, v20, v16
	v_mov_b32_e32 v16, v1
	v_add_co_ci_u32_e64 v24, null, 0, v21, vcc_lo
	v_subrev_nc_u32_e32 v15, s21, v22
	v_add_co_u32 v25, vcc_lo, v18, v13
	v_add_co_ci_u32_e64 v26, null, v19, v14, vcc_lo
	v_lshlrev_b64 v[13:14], 2, v[15:16]
	v_cmp_gt_i32_e32 vcc_lo, s21, v28
	v_add_co_ci_u32_e64 v28, null, 0, v3, s0
	v_add_co_u32 v30, s0, v18, v13
	v_add_co_ci_u32_e64 v31, null, v19, v14, s0
	v_subrev_nc_u32_e32 v13, s21, v29
	v_mov_b32_e32 v14, v1
	v_cmp_gt_i32_e64 s0, s21, v22
	v_cndmask_b32_e32 v16, v26, v24, vcc_lo
	v_cndmask_b32_e32 v15, v25, v23, vcc_lo
	v_add_co_u32 v26, vcc_lo, 0x2800, v2
	v_lshlrev_b64 v[13:14], 2, v[13:14]
	v_cndmask_b32_e64 v23, v31, v28, s0
	v_or_b32_e32 v28, 0xb00, v0
	v_cndmask_b32_e64 v22, v30, v27, s0
	v_add_co_ci_u32_e64 v27, null, 0, v3, vcc_lo
	v_add_co_u32 v30, vcc_lo, v18, v13
	v_add_co_ci_u32_e64 v31, null, v19, v14, vcc_lo
	v_cmp_gt_i32_e32 vcc_lo, s21, v29
	v_subrev_nc_u32_e32 v24, s21, v28
	v_mov_b32_e32 v25, v1
	global_load_dword v13, v[15:16], off
	global_load_dword v14, v[22:23], off
	v_cndmask_b32_e32 v15, v30, v26, vcc_lo
	v_or_b32_e32 v26, 0xc00, v0
	v_lshlrev_b64 v[22:23], 2, v[24:25]
	v_cndmask_b32_e32 v16, v31, v27, vcc_lo
	v_add_co_u32 v27, vcc_lo, 0x2c00, v2
	v_subrev_nc_u32_e32 v24, s21, v26
	v_add_co_ci_u32_e64 v29, null, 0, v3, vcc_lo
	v_lshlrev_b32_e32 v30, 2, v26
	v_add_co_u32 v31, vcc_lo, v18, v22
	v_add_co_ci_u32_e64 v32, null, v19, v23, vcc_lo
	v_cmp_gt_i32_e32 vcc_lo, s21, v28
	v_lshlrev_b64 v[22:23], 2, v[24:25]
	v_or_b32_e32 v28, 0xd00, v0
	v_add_co_u32 v24, s0, v20, v30
	v_add_co_ci_u32_e64 v25, null, 0, v21, s0
	v_subrev_nc_u32_e32 v20, s21, v28
	v_mov_b32_e32 v21, v1
	v_add_co_u32 v30, s0, v18, v22
	v_add_co_ci_u32_e64 v33, null, v19, v23, s0
	v_cndmask_b32_e32 v23, v32, v29, vcc_lo
	v_or_b32_e32 v29, 0xe00, v0
	v_lshlrev_b64 v[20:21], 2, v[20:21]
	v_cndmask_b32_e32 v22, v31, v27, vcc_lo
	v_cmp_gt_i32_e32 vcc_lo, s21, v26
	v_mov_b32_e32 v27, v1
	v_subrev_nc_u32_e32 v26, s21, v29
	v_add_co_u32 v31, s0, 0x3400, v2
	v_cndmask_b32_e32 v25, v33, v25, vcc_lo
	v_add_co_ci_u32_e64 v32, null, 0, v3, s0
	v_add_co_u32 v33, s0, v18, v20
	v_add_co_ci_u32_e64 v34, null, v19, v21, s0
	v_lshlrev_b64 v[20:21], 2, v[26:27]
	v_cmp_gt_i32_e64 s0, s21, v28
	v_add_co_u32 v28, s1, 0x3800, v2
	v_add_co_ci_u32_e64 v35, null, 0, v3, s1
	v_add_co_u32 v20, s1, v18, v20
	v_add_co_ci_u32_e64 v21, null, v19, v21, s1
	v_cmp_gt_i32_e64 s1, s21, v29
	v_cndmask_b32_e32 v24, v30, v24, vcc_lo
	v_cndmask_b32_e64 v27, v34, v32, s0
	v_cndmask_b32_e64 v26, v33, v31, s0
	s_mov_b32 s0, exec_lo
	v_cndmask_b32_e64 v29, v21, v35, s1
	v_cndmask_b32_e64 v28, v20, v28, s1
	global_load_dword v15, v[15:16], off
	global_load_dword v16, v[22:23], off
	;; [unrolled: 1-line block ×5, first 2 shown]
	v_or_b32_e32 v25, 0xf00, v0
	v_add_nc_u32_e32 v23, s21, v17
	v_mov_b32_e32 v24, 0
	v_cmpx_lt_i32_e64 v25, v23
	s_cbranch_execz .LBB25_254
; %bb.253:
	v_subrev_nc_u32_e32 v26, s21, v25
	v_mov_b32_e32 v27, 0
	v_add_co_u32 v2, vcc_lo, 0x3c00, v2
	v_add_co_ci_u32_e64 v3, null, 0, v3, vcc_lo
	v_lshlrev_b64 v[26:27], 2, v[26:27]
	v_add_co_u32 v18, vcc_lo, v18, v26
	v_add_co_ci_u32_e64 v19, null, v19, v27, vcc_lo
	v_cmp_gt_i32_e32 vcc_lo, s21, v25
	v_cndmask_b32_e32 v3, v19, v3, vcc_lo
	v_cndmask_b32_e32 v2, v18, v2, vcc_lo
	global_load_dword v24, v[2:3], off
.LBB25_254:
	s_or_b32 exec_lo, exec_lo, s0
	v_lshlrev_b32_e32 v2, 4, v0
	s_waitcnt vmcnt(13)
	ds_write2st64_b32 v4, v6, v7 offset0:4 offset1:8
	s_waitcnt vmcnt(11)
	ds_write2st64_b32 v4, v5, v8 offset0:12 offset1:16
	;; [unrolled: 2-line block ×5, first 2 shown]
	s_lshl_b32 s1, s21, 2
	s_mov_b32 s2, 0
	v_min_i32_e32 v3, v23, v2
	s_mov_b32 s0, exec_lo
	s_waitcnt vmcnt(3)
	ds_write2st64_b32 v4, v15, v16 offset0:44 offset1:48
	s_waitcnt vmcnt(1)
	ds_write2st64_b32 v4, v20, v21 offset0:52 offset1:56
	;; [unrolled: 2-line block ×3, first 2 shown]
	s_waitcnt lgkmcnt(0)
	s_waitcnt_vscnt null, 0x0
	s_barrier
	v_sub_nc_u32_e32 v2, v3, v17
	v_min_i32_e32 v5, s21, v3
	buffer_gl0_inv
	v_max_i32_e32 v2, 0, v2
	v_cmpx_lt_i32_e64 v2, v5
	s_cbranch_execz .LBB25_258
; %bb.255:
	v_lshlrev_b32_e32 v6, 2, v3
	v_add3_u32 v6, s1, v6, 0x400
	.p2align	6
.LBB25_256:                             ; =>This Inner Loop Header: Depth=1
	v_add_nc_u32_e32 v7, v5, v2
	v_lshrrev_b32_e32 v7, 1, v7
	v_not_b32_e32 v8, v7
	v_lshlrev_b32_e32 v9, 2, v7
	v_add_nc_u32_e32 v10, 1, v7
	v_lshl_add_u32 v8, v8, 2, v6
	ds_read_b32 v9, v9 offset:1024
	ds_read_b32 v8, v8
	s_waitcnt lgkmcnt(0)
	v_cmp_lt_i32_e32 vcc_lo, v8, v9
	v_cndmask_b32_e32 v5, v5, v7, vcc_lo
	v_cndmask_b32_e32 v2, v10, v2, vcc_lo
	v_cmp_ge_i32_e32 vcc_lo, v2, v5
	s_or_b32 s2, vcc_lo, s2
	s_andn2_b32 exec_lo, exec_lo, s2
	s_cbranch_execnz .LBB25_256
; %bb.257:
	s_or_b32 exec_lo, exec_lo, s2
.LBB25_258:
	s_or_b32 exec_lo, exec_lo, s0
	v_sub_nc_u32_e32 v8, v3, v2
	v_mov_b32_e32 v6, 0
	s_mov_b32 s2, exec_lo
	v_cmpx_lt_i32_e64 v8, v17
	s_cbranch_execz .LBB25_293
; %bb.259:
	v_lshl_add_u32 v6, v8, 2, s1
	v_mov_b32_e32 v5, 0
	v_mov_b32_e32 v9, 0
	s_mov_b32 s0, exec_lo
	ds_read_b32 v7, v6 offset:1024
	v_cmpx_lt_i32_e32 0, v2
	s_cbranch_execnz .LBB25_269
; %bb.260:
	s_or_b32 exec_lo, exec_lo, s0
	s_mov_b32 s0, exec_lo
	v_cmpx_lt_i32_e64 v5, v9
	s_cbranch_execnz .LBB25_270
.LBB25_261:
	s_or_b32 exec_lo, exec_lo, s0
	s_mov_b32 s0, exec_lo
	v_cmpx_lt_i32_e64 v5, v9
	s_cbranch_execnz .LBB25_271
.LBB25_262:
	s_or_b32 exec_lo, exec_lo, s0
	s_mov_b32 s0, exec_lo
	v_cmpx_lt_i32_e64 v5, v9
	s_cbranch_execnz .LBB25_272
.LBB25_263:
	s_or_b32 exec_lo, exec_lo, s0
	s_mov_b32 s0, exec_lo
	v_cmpx_lt_i32_e64 v5, v9
	s_cbranch_execnz .LBB25_273
	s_branch .LBB25_276
.LBB25_264:
	v_add_nc_u32_e32 v6, 1, v5
	v_lshlrev_b32_e32 v7, 2, v5
	v_mov_b32_e32 v5, v6
	ds_write_b32 v7, v23 offset:19456
	s_or_b32 exec_lo, exec_lo, s1
	s_and_saveexec_b32 s1, s11
	s_cbranch_execz .LBB25_220
.LBB25_265:
	v_lshlrev_b32_e32 v6, 2, v5
	v_add_nc_u32_e32 v5, 1, v5
	ds_write_b32 v6, v24 offset:19456
	s_or_b32 exec_lo, exec_lo, s1
	s_and_saveexec_b32 s1, s22
	s_cbranch_execz .LBB25_221
.LBB25_266:
	v_lshlrev_b32_e32 v6, 2, v5
	v_add_nc_u32_e32 v5, 1, v5
	ds_write_b32 v6, v25 offset:19456
	s_or_b32 exec_lo, exec_lo, s1
	s_and_saveexec_b32 s1, s10
	s_cbranch_execz .LBB25_222
.LBB25_267:
	v_lshlrev_b32_e32 v6, 2, v5
	v_add_nc_u32_e32 v5, 1, v5
	ds_write_b32 v6, v26 offset:19456
	s_or_b32 exec_lo, exec_lo, s1
	s_and_saveexec_b32 s1, s9
	s_cbranch_execz .LBB25_223
.LBB25_268:
	v_lshlrev_b32_e32 v6, 2, v5
	v_add_nc_u32_e32 v5, 1, v5
	ds_write_b32 v6, v27 offset:19456
	s_or_b32 exec_lo, exec_lo, s1
	s_and_saveexec_b32 s1, s8
	s_cbranch_execnz .LBB25_224
	s_branch .LBB25_225
.LBB25_269:
	v_mul_lo_u32 v5, 0x1ff, v2
	v_ashrrev_i32_e32 v9, 9, v5
	v_lshlrev_b32_e32 v5, 2, v9
	v_add_nc_u32_e32 v10, 1, v9
	ds_read_b32 v5, v5 offset:1024
	s_waitcnt lgkmcnt(0)
	v_cmp_lt_i32_e32 vcc_lo, v5, v7
	v_cndmask_b32_e32 v5, 0, v10, vcc_lo
	v_cndmask_b32_e32 v9, v9, v2, vcc_lo
	s_or_b32 exec_lo, exec_lo, s0
	s_mov_b32 s0, exec_lo
	v_cmpx_lt_i32_e64 v5, v9
	s_cbranch_execz .LBB25_261
.LBB25_270:
	v_sub_nc_u32_e32 v10, v5, v9
	v_lshl_add_u32 v10, v9, 7, v10
	v_ashrrev_i32_e32 v10, 7, v10
	v_lshlrev_b32_e32 v11, 2, v10
	v_add_nc_u32_e32 v12, 1, v10
	ds_read_b32 v11, v11 offset:1024
	s_waitcnt lgkmcnt(0)
	v_cmp_lt_i32_e32 vcc_lo, v11, v7
	v_cndmask_b32_e32 v5, v5, v12, vcc_lo
	v_cndmask_b32_e32 v9, v10, v9, vcc_lo
	s_or_b32 exec_lo, exec_lo, s0
	s_mov_b32 s0, exec_lo
	v_cmpx_lt_i32_e64 v5, v9
	s_cbranch_execz .LBB25_262
.LBB25_271:
	v_sub_nc_u32_e32 v10, v5, v9
	v_lshl_add_u32 v10, v9, 5, v10
	v_ashrrev_i32_e32 v10, 5, v10
	v_lshlrev_b32_e32 v11, 2, v10
	v_add_nc_u32_e32 v12, 1, v10
	ds_read_b32 v11, v11 offset:1024
	s_waitcnt lgkmcnt(0)
	v_cmp_lt_i32_e32 vcc_lo, v11, v7
	v_cndmask_b32_e32 v5, v5, v12, vcc_lo
	v_cndmask_b32_e32 v9, v10, v9, vcc_lo
	s_or_b32 exec_lo, exec_lo, s0
	s_mov_b32 s0, exec_lo
	v_cmpx_lt_i32_e64 v5, v9
	s_cbranch_execz .LBB25_263
.LBB25_272:
	v_sub_nc_u32_e32 v10, v5, v9
	v_lshl_add_u32 v10, v9, 4, v10
	v_ashrrev_i32_e32 v10, 4, v10
	v_lshlrev_b32_e32 v11, 2, v10
	v_add_nc_u32_e32 v12, 1, v10
	ds_read_b32 v11, v11 offset:1024
	s_waitcnt lgkmcnt(0)
	v_cmp_lt_i32_e32 vcc_lo, v11, v7
	v_cndmask_b32_e32 v5, v5, v12, vcc_lo
	v_cndmask_b32_e32 v9, v10, v9, vcc_lo
	s_or_b32 exec_lo, exec_lo, s0
	s_mov_b32 s0, exec_lo
	v_cmpx_lt_i32_e64 v5, v9
	s_cbranch_execz .LBB25_276
.LBB25_273:
	s_mov_b32 s3, 0
.LBB25_274:                             ; =>This Inner Loop Header: Depth=1
	v_sub_nc_u32_e32 v10, v5, v9
	v_lshl_add_u32 v10, v9, 1, v10
	v_ashrrev_i32_e32 v10, 1, v10
	v_lshlrev_b32_e32 v11, 2, v10
	v_add_nc_u32_e32 v12, 1, v10
	ds_read_b32 v11, v11 offset:1024
	s_waitcnt lgkmcnt(0)
	v_cmp_lt_i32_e32 vcc_lo, v11, v7
	v_cndmask_b32_e32 v5, v5, v12, vcc_lo
	v_cndmask_b32_e32 v9, v10, v9, vcc_lo
	v_cmp_ge_i32_e32 vcc_lo, v5, v9
	s_or_b32 s3, vcc_lo, s3
	s_andn2_b32 exec_lo, exec_lo, s3
	s_cbranch_execnz .LBB25_274
; %bb.275:
	s_or_b32 exec_lo, exec_lo, s3
.LBB25_276:
	s_or_b32 exec_lo, exec_lo, s0
	v_mov_b32_e32 v9, 0
	v_mov_b32_e32 v10, v8
	s_mov_b32 s0, exec_lo
	v_cmpx_lt_i32_e32 0, v8
	s_cbranch_execnz .LBB25_281
; %bb.277:
	s_or_b32 exec_lo, exec_lo, s0
	s_mov_b32 s0, exec_lo
	v_cmpx_lt_i32_e64 v9, v10
	s_cbranch_execnz .LBB25_282
.LBB25_278:
	s_or_b32 exec_lo, exec_lo, s0
	s_mov_b32 s0, exec_lo
	v_cmpx_lt_i32_e64 v9, v10
	s_cbranch_execnz .LBB25_283
.LBB25_279:
	s_or_b32 exec_lo, exec_lo, s0
	s_mov_b32 s0, exec_lo
	v_cmpx_lt_i32_e64 v9, v10
	s_cbranch_execnz .LBB25_284
.LBB25_280:
	s_or_b32 exec_lo, exec_lo, s0
	s_mov_b32 s0, exec_lo
	v_cmpx_lt_i32_e64 v9, v10
	s_cbranch_execnz .LBB25_285
	s_branch .LBB25_288
.LBB25_281:
	v_mul_lo_u32 v9, 0x1ff, v8
	v_lshrrev_b32_e32 v10, 9, v9
	v_lshl_add_u32 v9, v10, 2, s1
	v_add_nc_u32_e32 v11, 1, v10
	ds_read_b32 v9, v9 offset:1024
	s_waitcnt lgkmcnt(0)
	v_cmp_lt_i32_e32 vcc_lo, v9, v7
	v_cndmask_b32_e32 v9, 0, v11, vcc_lo
	v_cndmask_b32_e32 v10, v10, v8, vcc_lo
	s_or_b32 exec_lo, exec_lo, s0
	s_mov_b32 s0, exec_lo
	v_cmpx_lt_i32_e64 v9, v10
	s_cbranch_execz .LBB25_278
.LBB25_282:
	v_sub_nc_u32_e32 v11, v9, v10
	v_lshl_add_u32 v11, v10, 7, v11
	v_ashrrev_i32_e32 v11, 7, v11
	v_lshl_add_u32 v12, v11, 2, s1
	v_add_nc_u32_e32 v13, 1, v11
	ds_read_b32 v12, v12 offset:1024
	s_waitcnt lgkmcnt(0)
	v_cmp_lt_i32_e32 vcc_lo, v12, v7
	v_cndmask_b32_e32 v9, v9, v13, vcc_lo
	v_cndmask_b32_e32 v10, v11, v10, vcc_lo
	s_or_b32 exec_lo, exec_lo, s0
	s_mov_b32 s0, exec_lo
	v_cmpx_lt_i32_e64 v9, v10
	s_cbranch_execz .LBB25_279
.LBB25_283:
	v_sub_nc_u32_e32 v11, v9, v10
	v_lshl_add_u32 v11, v10, 5, v11
	v_ashrrev_i32_e32 v11, 5, v11
	v_lshl_add_u32 v12, v11, 2, s1
	v_add_nc_u32_e32 v13, 1, v11
	ds_read_b32 v12, v12 offset:1024
	s_waitcnt lgkmcnt(0)
	v_cmp_lt_i32_e32 vcc_lo, v12, v7
	v_cndmask_b32_e32 v9, v9, v13, vcc_lo
	v_cndmask_b32_e32 v10, v11, v10, vcc_lo
	s_or_b32 exec_lo, exec_lo, s0
	s_mov_b32 s0, exec_lo
	v_cmpx_lt_i32_e64 v9, v10
	s_cbranch_execz .LBB25_280
.LBB25_284:
	v_sub_nc_u32_e32 v11, v9, v10
	v_lshl_add_u32 v11, v10, 4, v11
	v_ashrrev_i32_e32 v11, 4, v11
	v_lshl_add_u32 v12, v11, 2, s1
	v_add_nc_u32_e32 v13, 1, v11
	ds_read_b32 v12, v12 offset:1024
	s_waitcnt lgkmcnt(0)
	v_cmp_lt_i32_e32 vcc_lo, v12, v7
	v_cndmask_b32_e32 v9, v9, v13, vcc_lo
	v_cndmask_b32_e32 v10, v11, v10, vcc_lo
	s_or_b32 exec_lo, exec_lo, s0
	s_mov_b32 s0, exec_lo
	v_cmpx_lt_i32_e64 v9, v10
	s_cbranch_execz .LBB25_288
.LBB25_285:
	s_mov_b32 s3, 0
.LBB25_286:                             ; =>This Inner Loop Header: Depth=1
	v_sub_nc_u32_e32 v11, v9, v10
	v_lshl_add_u32 v11, v10, 1, v11
	v_ashrrev_i32_e32 v11, 1, v11
	v_lshl_add_u32 v12, v11, 2, s1
	v_add_nc_u32_e32 v13, 1, v11
	ds_read_b32 v12, v12 offset:1024
	s_waitcnt lgkmcnt(0)
	v_cmp_lt_i32_e32 vcc_lo, v12, v7
	v_cndmask_b32_e32 v9, v9, v13, vcc_lo
	v_cndmask_b32_e32 v10, v11, v10, vcc_lo
	v_cmp_ge_i32_e32 vcc_lo, v9, v10
	s_or_b32 s3, vcc_lo, s3
	s_andn2_b32 exec_lo, exec_lo, s3
	s_cbranch_execnz .LBB25_286
; %bb.287:
	s_or_b32 exec_lo, exec_lo, s3
.LBB25_288:
	s_or_b32 exec_lo, exec_lo, s0
	v_sub_nc_u32_e32 v2, v2, v5
	v_sub_nc_u32_e32 v11, v8, v9
	s_mov_b32 s0, exec_lo
	v_add_nc_u32_e32 v10, v11, v2
	v_ashrrev_i32_e32 v2, 1, v10
	v_max_i32_e32 v2, v2, v11
	v_add3_u32 v9, v9, v2, 1
	v_min_i32_e32 v9, v9, v17
	v_sub_nc_u32_e32 v9, v9, v8
	v_mov_b32_e32 v8, 0
	v_cmpx_lt_i32_e32 0, v9
	s_cbranch_execz .LBB25_292
; %bb.289:
	v_mov_b32_e32 v8, 0
	s_mov_b32 s3, 0
.LBB25_290:                             ; =>This Inner Loop Header: Depth=1
	v_add_nc_u32_e32 v12, v8, v9
	v_lshrrev_b32_e32 v12, 1, v12
	v_lshl_add_u32 v13, v12, 2, v6
	v_add_nc_u32_e32 v14, 1, v12
	ds_read_b32 v13, v13 offset:1024
	s_waitcnt lgkmcnt(0)
	v_cmp_lt_i32_e32 vcc_lo, v7, v13
	v_cndmask_b32_e32 v8, v14, v8, vcc_lo
	v_cndmask_b32_e32 v9, v9, v12, vcc_lo
	v_cmp_ge_i32_e32 vcc_lo, v8, v9
	s_or_b32 s3, vcc_lo, s3
	s_andn2_b32 exec_lo, exec_lo, s3
	s_cbranch_execnz .LBB25_290
; %bb.291:
	s_or_b32 exec_lo, exec_lo, s3
.LBB25_292:
	s_or_b32 exec_lo, exec_lo, s0
	v_add_nc_u32_e32 v6, v8, v11
	s_waitcnt lgkmcnt(0)
	v_min_i32_e32 v7, v6, v2
	v_cmp_lt_i32_e32 vcc_lo, v2, v6
	v_sub_nc_u32_e32 v8, v10, v7
	v_add_nc_u32_e32 v7, 1, v7
	v_add_nc_u32_e32 v2, v8, v5
	v_cmp_eq_u32_e64 s0, v8, v7
	s_and_b32 s0, vcc_lo, s0
	v_cndmask_b32_e64 v6, 0, 1, s0
.LBB25_293:
	s_or_b32 exec_lo, exec_lo, s2
	v_add_nc_u32_e32 v3, v6, v3
	s_lshl_b32 s0, s21, 16
	v_lshlrev_b32_e32 v9, 2, v2
	v_or_b32_e32 v5, s0, v17
	v_sub_co_u32 v8, s0, v0, 1
	v_sub_nc_u32_e32 v6, v3, v2
	v_lshl_or_b32 v7, v2, 16, v6
	v_cndmask_b32_e64 v5, v7, v5, s0
	v_cndmask_b32_e64 v7, v8, 0xff, s0
	v_lshlrev_b32_e32 v8, 2, v7
	v_lshl_add_u32 v7, v6, 2, s1
	ds_write_b32 v8, v5
	s_waitcnt lgkmcnt(0)
	s_barrier
	buffer_gl0_inv
	ds_read_b32 v5, v4
	ds_read_b32 v18, v9 offset:1024
	ds_read_b32 v8, v7 offset:1024
	s_waitcnt lgkmcnt(2)
	v_cmp_le_i32_sdwa s3, sext(v5), v2 src0_sel:WORD_1 src1_sel:DWORD
	v_cmp_le_i32_sdwa s2, v5, v6 src0_sel:WORD_0 src1_sel:DWORD
	s_waitcnt lgkmcnt(0)
	v_cmp_lt_i32_e32 vcc_lo, v8, v18
	v_mov_b32_e32 v19, v18
	v_cndmask_b32_e64 v10, 0, 1, s3
	v_cndmask_b32_e64 v4, 0, 1, vcc_lo
	s_or_b32 vcc_lo, s3, s2
	v_cndmask_b32_e32 v4, v4, v10, vcc_lo
	v_and_b32_e32 v4, 1, v4
	v_cmp_eq_u32_e64 s1, 1, v4
	s_xor_b32 s4, s1, -1
	s_and_saveexec_b32 s1, s4
; %bb.294:
	ds_read_b32 v19, v9 offset:1028
	v_add_nc_u32_e32 v2, 1, v2
; %bb.295:
	s_or_b32 exec_lo, exec_lo, s1
	v_cmp_lt_i32_e64 s1, v18, v8
	s_xor_b32 s3, s3, -1
	v_cndmask_b32_e64 v4, 0, 1, s1
	s_and_b32 s1, s2, s3
	v_cndmask_b32_e64 v9, 0, 1, s1
	v_cndmask_b32_e32 v4, v4, v9, vcc_lo
	v_and_b32_e32 v4, 1, v4
	v_cmp_eq_u32_e32 vcc_lo, 1, v4
	v_add_nc_u32_e32 v4, s21, v6
	s_xor_b32 s2, vcc_lo, -1
	s_and_saveexec_b32 s1, s2
; %bb.296:
	ds_read_b32 v8, v7 offset:1028
	v_add_nc_u32_e32 v4, 1, v4
; %bb.297:
	s_or_b32 exec_lo, exec_lo, s1
	v_add_nc_u32_sdwa v9, v5, s21 dst_sel:DWORD dst_unused:UNUSED_PAD src0_sel:WORD_0 src1_sel:DWORD
	v_cmp_ge_i32_sdwa s3, v2, sext(v5) src0_sel:DWORD src1_sel:WORD_1
	s_waitcnt lgkmcnt(0)
	v_cmp_lt_i32_e64 s2, v8, v19
	v_mov_b32_e32 v20, v19
	v_cmp_ge_i32_e64 s1, v4, v9
	v_cndmask_b32_e64 v6, 0, 1, s3
	v_cndmask_b32_e64 v7, 0, 1, s2
	s_or_b32 s2, s3, s1
	v_cndmask_b32_e64 v6, v7, v6, s2
	v_and_b32_e32 v6, 1, v6
	v_cmp_eq_u32_e64 s2, 1, v6
	v_mov_b32_e32 v6, v2
	s_xor_b32 s4, s2, -1
	s_and_saveexec_b32 s2, s4
; %bb.298:
	v_lshlrev_b32_e32 v6, 2, v2
	ds_read_b32 v20, v6 offset:1028
	v_add_nc_u32_e32 v6, 1, v2
; %bb.299:
	s_or_b32 exec_lo, exec_lo, s2
	v_cmp_lt_i32_e64 s2, v19, v8
	v_mov_b32_e32 v7, v4
	s_or_b32 s1, s1, s2
	s_xor_b32 s2, s3, -1
	s_and_b32 s15, s2, s1
	s_xor_b32 s2, s15, -1
	s_and_saveexec_b32 s1, s2
; %bb.300:
	v_lshlrev_b32_e32 v7, 2, v4
	ds_read_b32 v8, v7 offset:1028
	v_add_nc_u32_e32 v7, 1, v4
; %bb.301:
	s_or_b32 exec_lo, exec_lo, s1
	v_cmp_ge_i32_sdwa s3, v6, sext(v5) src0_sel:DWORD src1_sel:WORD_1
	s_waitcnt lgkmcnt(0)
	v_cmp_lt_i32_e64 s2, v8, v20
	v_cmp_ge_i32_e64 s1, v7, v9
	v_mov_b32_e32 v21, v20
	v_cndmask_b32_e64 v10, 0, 1, s3
	v_cndmask_b32_e64 v11, 0, 1, s2
	s_or_b32 s2, s3, s1
	v_cndmask_b32_e64 v10, v11, v10, s2
	v_and_b32_e32 v10, 1, v10
	v_cmp_eq_u32_e64 s2, 1, v10
	v_mov_b32_e32 v10, v6
	s_xor_b32 s4, s2, -1
	s_and_saveexec_b32 s2, s4
; %bb.302:
	v_lshlrev_b32_e32 v10, 2, v6
	ds_read_b32 v21, v10 offset:1028
	v_add_nc_u32_e32 v10, 1, v6
; %bb.303:
	s_or_b32 exec_lo, exec_lo, s2
	v_cmp_lt_i32_e64 s2, v20, v8
	v_mov_b32_e32 v11, v7
	s_or_b32 s1, s1, s2
	s_xor_b32 s2, s3, -1
	s_and_b32 s14, s2, s1
	s_xor_b32 s2, s14, -1
	s_and_saveexec_b32 s1, s2
; %bb.304:
	v_lshlrev_b32_e32 v8, 2, v7
	v_add_nc_u32_e32 v11, 1, v7
	ds_read_b32 v8, v8 offset:1028
; %bb.305:
	s_or_b32 exec_lo, exec_lo, s1
	v_cmp_ge_i32_sdwa s3, v10, sext(v5) src0_sel:DWORD src1_sel:WORD_1
	s_waitcnt lgkmcnt(0)
	v_cmp_lt_i32_e64 s2, v8, v21
	v_cmp_ge_i32_e64 s1, v11, v9
	v_mov_b32_e32 v22, v21
	v_cndmask_b32_e64 v12, 0, 1, s3
	v_cndmask_b32_e64 v13, 0, 1, s2
	s_or_b32 s2, s3, s1
	v_cndmask_b32_e64 v12, v13, v12, s2
	v_and_b32_e32 v12, 1, v12
	v_cmp_eq_u32_e64 s2, 1, v12
	v_mov_b32_e32 v12, v10
	s_xor_b32 s4, s2, -1
	s_and_saveexec_b32 s2, s4
; %bb.306:
	v_lshlrev_b32_e32 v12, 2, v10
	ds_read_b32 v22, v12 offset:1028
	v_add_nc_u32_e32 v12, 1, v10
; %bb.307:
	s_or_b32 exec_lo, exec_lo, s2
	v_cmp_lt_i32_e64 s2, v21, v8
	v_mov_b32_e32 v13, v11
	s_or_b32 s1, s1, s2
	s_xor_b32 s2, s3, -1
	s_and_b32 s22, s2, s1
	s_xor_b32 s2, s22, -1
	s_and_saveexec_b32 s1, s2
; %bb.308:
	v_lshlrev_b32_e32 v8, 2, v11
	v_add_nc_u32_e32 v13, 1, v11
	ds_read_b32 v8, v8 offset:1028
	;; [unrolled: 33-line block ×4, first 2 shown]
; %bb.317:
	s_or_b32 exec_lo, exec_lo, s1
	v_cmp_ge_i32_sdwa s3, v16, sext(v5) src0_sel:DWORD src1_sel:WORD_1
	s_waitcnt lgkmcnt(0)
	v_cmp_lt_i32_e64 s2, v8, v24
	v_cmp_ge_i32_e64 s1, v17, v9
	v_mov_b32_e32 v34, v16
	v_cndmask_b32_e64 v25, 0, 1, s3
	v_cndmask_b32_e64 v26, 0, 1, s2
	s_or_b32 s2, s3, s1
	v_cndmask_b32_e64 v25, v26, v25, s2
	v_and_b32_e32 v25, 1, v25
	v_cmp_eq_u32_e64 s2, 1, v25
	v_mov_b32_e32 v25, v24
	s_xor_b32 s4, s2, -1
	s_and_saveexec_b32 s2, s4
; %bb.318:
	v_lshlrev_b32_e32 v25, 2, v16
	v_add_nc_u32_e32 v34, 1, v16
	ds_read_b32 v25, v25 offset:1028
; %bb.319:
	s_or_b32 exec_lo, exec_lo, s2
	v_cmp_lt_i32_e64 s2, v24, v8
	v_mov_b32_e32 v35, v17
	s_or_b32 s1, s1, s2
	s_xor_b32 s2, s3, -1
	s_and_b32 s25, s2, s1
	s_xor_b32 s2, s25, -1
	s_and_saveexec_b32 s1, s2
; %bb.320:
	v_lshlrev_b32_e32 v8, 2, v17
	v_add_nc_u32_e32 v35, 1, v17
	ds_read_b32 v8, v8 offset:1028
; %bb.321:
	s_or_b32 exec_lo, exec_lo, s1
	v_cmp_ge_i32_sdwa s3, v34, sext(v5) src0_sel:DWORD src1_sel:WORD_1
	s_waitcnt lgkmcnt(0)
	v_cmp_lt_i32_e64 s2, v8, v25
	v_cmp_ge_i32_e64 s1, v35, v9
	v_mov_b32_e32 v36, v34
	v_cndmask_b32_e64 v26, 0, 1, s3
	v_cndmask_b32_e64 v27, 0, 1, s2
	s_or_b32 s2, s3, s1
	v_cndmask_b32_e64 v26, v27, v26, s2
	v_and_b32_e32 v26, 1, v26
	v_cmp_eq_u32_e64 s2, 1, v26
	v_mov_b32_e32 v26, v25
	s_xor_b32 s4, s2, -1
	s_and_saveexec_b32 s2, s4
; %bb.322:
	v_lshlrev_b32_e32 v26, 2, v34
	v_add_nc_u32_e32 v36, 1, v34
	ds_read_b32 v26, v26 offset:1028
; %bb.323:
	s_or_b32 exec_lo, exec_lo, s2
	v_cmp_lt_i32_e64 s2, v25, v8
	v_mov_b32_e32 v37, v35
	s_or_b32 s1, s1, s2
	s_xor_b32 s2, s3, -1
	s_and_b32 s26, s2, s1
	s_xor_b32 s2, s26, -1
	s_and_saveexec_b32 s1, s2
; %bb.324:
	v_lshlrev_b32_e32 v8, 2, v35
	v_add_nc_u32_e32 v37, 1, v35
	ds_read_b32 v8, v8 offset:1028
	;; [unrolled: 33-line block ×8, first 2 shown]
; %bb.349:
	s_or_b32 exec_lo, exec_lo, s1
	v_cmp_ge_i32_sdwa s3, v48, sext(v5) src0_sel:DWORD src1_sel:WORD_1
	s_waitcnt lgkmcnt(0)
	v_cmp_lt_i32_e64 s2, v8, v32
	v_cmp_ge_i32_e64 s1, v49, v9
	v_cndmask_b32_e64 v33, 0, 1, s3
	v_cndmask_b32_e64 v50, 0, 1, s2
	s_or_b32 s2, s3, s1
	v_cndmask_b32_e64 v33, v50, v33, s2
	v_mov_b32_e32 v50, v48
	v_and_b32_e32 v33, 1, v33
	v_cmp_eq_u32_e64 s2, 1, v33
	v_mov_b32_e32 v33, v32
	s_xor_b32 s4, s2, -1
	s_and_saveexec_b32 s2, s4
; %bb.350:
	v_lshlrev_b32_e32 v33, 2, v48
	v_add_nc_u32_e32 v50, 1, v48
	ds_read_b32 v33, v33 offset:1028
; %bb.351:
	s_or_b32 exec_lo, exec_lo, s2
	v_cmp_lt_i32_e64 s2, v32, v8
	v_mov_b32_e32 v51, v49
	s_or_b32 s1, s1, s2
	s_xor_b32 s2, s3, -1
	s_and_b32 s34, s2, s1
	s_xor_b32 s2, s34, -1
	s_and_saveexec_b32 s1, s2
; %bb.352:
	v_lshlrev_b32_e32 v8, 2, v49
	v_add_nc_u32_e32 v51, 1, v49
	ds_read_b32 v8, v8 offset:1028
; %bb.353:
	s_or_b32 exec_lo, exec_lo, s1
	v_add_nc_u32_sdwa v53, v9, sext(v5) dst_sel:DWORD dst_unused:UNUSED_PAD src0_sel:DWORD src1_sel:WORD_1
	v_cmp_lt_i32_sdwa s4, v50, sext(v5) src0_sel:DWORD src1_sel:WORD_1
	v_cmp_ge_i32_e64 s1, v51, v9
	s_waitcnt lgkmcnt(0)
	v_cmp_lt_i32_e64 s2, v33, v8
	v_add_nc_u32_e32 v5, v49, v48
	v_add_nc_u32_e32 v52, v51, v50
	;; [unrolled: 1-line block ×4, first 2 shown]
	s_or_b32 s35, s1, s2
	v_cmp_lt_i32_e64 s1, v5, v53
	v_add_nc_u32_e32 v5, v35, v34
	v_cmp_lt_i32_e64 s3, v52, v53
	v_add_nc_u32_e32 v8, v47, v46
	v_add_nc_u32_e32 v9, v45, v44
	;; [unrolled: 1-line block ×3, first 2 shown]
	v_cmp_lt_i32_e64 s6, v5, v53
	v_add_nc_u32_e32 v5, v7, v6
	v_add_nc_u32_e32 v6, v13, v12
	v_cmp_lt_i32_e64 s11, v2, v53
	v_cmp_lt_i32_e64 s13, v3, v53
	s_and_b32 s36, s4, s3
	v_cmp_lt_i32_e64 s9, v5, v53
	v_cmp_lt_i32_e64 s2, v8, v53
	;; [unrolled: 1-line block ×3, first 2 shown]
	v_add_nc_u32_e32 v8, v17, v16
	v_add_nc_u32_e32 v9, v15, v14
	v_cmp_lt_i32_e64 s10, v6, v53
	v_cmp_lt_i32_e64 s12, v4, v53
	s_and_b32 s14, s9, s14
	s_and_b32 s11, s11, s15
	s_and_b32 s13, s13, vcc_lo
	v_cndmask_b32_e64 v2, 0, 4, s14
	v_cndmask_b32_e64 v3, 0, 2, s11
	;; [unrolled: 1-line block ×3, first 2 shown]
	v_cmp_lt_i32_e64 s7, v8, v53
	v_cmp_lt_i32_e64 s8, v9, v53
	s_and_b32 s9, s10, s23
	s_and_b32 s10, s12, s22
	v_cndmask_b32_e64 v5, 0, 16, s9
	v_cndmask_b32_e64 v6, 0, 8, s10
	v_or3_b32 v2, v3, v4, v2
	v_add_nc_u32_e32 v14, v39, v38
	v_add_nc_u32_e32 v15, v37, v36
	s_and_b32 s7, s7, s25
	s_and_b32 s8, s8, s24
	v_cndmask_b32_e64 v3, 0, 64, s7
	v_cndmask_b32_e64 v4, 0, 32, s8
	v_or3_b32 v2, v2, v6, v5
	v_add_nc_u32_e32 v42, v43, v42
	v_cmp_lt_i32_e32 vcc_lo, v14, v53
	v_add_nc_u32_e32 v40, v41, v40
	v_cmp_lt_i32_e64 s7, v15, v53
	s_and_b32 s6, s6, s26
	v_or3_b32 v39, v2, v4, v3
	v_cndmask_b32_e64 v5, 0, 0x80, s6
	v_cmp_lt_i32_e64 s4, v42, v53
	s_and_b32 s6, vcc_lo, s28
	v_cmp_lt_i32_e64 s5, v40, v53
	v_cndmask_b32_e64 v2, 0, 0x200, s6
	s_and_b32 s6, s7, s27
	v_or_b32_e32 v38, v5, v39
	v_cndmask_b32_e64 v3, 0, 0x100, s6
	s_and_b32 s4, s4, s30
	s_and_b32 s2, s2, s33
	v_cndmask_b32_e64 v4, 0, 0x800, s4
	s_and_b32 s4, s5, s29
	v_or3_b32 v37, v3, v2, v38
	v_cndmask_b32_e64 v5, 0, 0x400, s4
	v_cndmask_b32_e64 v2, 0, 0x2000, s2
	s_and_b32 s2, s3, s31
	s_and_b32 s1, s1, s34
	v_cndmask_b32_e64 v3, 0, 0x1000, s2
	v_or3_b32 v36, v5, v4, v37
	s_and_b32 s2, s36, s35
	v_cndmask_b32_e64 v5, 0, 0x4000, s1
	v_cndmask_b32_e64 v4, 0, 0x8000, s2
	v_mov_b32_e32 v11, 0
	v_or3_b32 v35, v3, v2, v36
	v_mbcnt_lo_u32_b32 v40, -1, 0
	s_cmp_lg_u32 s20, 0
	s_barrier
	v_or3_b32 v34, v5, v4, v35
	buffer_gl0_inv
	v_bcnt_u32_b32 v10, v34, 0
	s_cbranch_scc0 .LBB25_411
; %bb.354:
	v_mov_b32_e32 v2, v10
	v_and_b32_e32 v6, 15, v40
	v_mov_b32_dpp v8, v10 row_shr:1 row_mask:0xf bank_mask:0xf
	v_mov_b32_dpp v7, v11 row_shr:1 row_mask:0xf bank_mask:0xf
	v_mov_b32_e32 v5, v10
	v_mov_b32_e32 v4, v11
	;; [unrolled: 1-line block ×3, first 2 shown]
	s_mov_b32 s1, exec_lo
	v_cmpx_ne_u32_e32 0, v6
; %bb.355:
	v_add_co_u32 v5, s2, v8, v10
	v_add_co_ci_u32_e64 v2, null, 0, 0, s2
	v_add_co_u32 v3, vcc_lo, 0, v5
	v_add_co_ci_u32_e64 v4, null, v7, v2, vcc_lo
	v_mov_b32_e32 v2, v3
	v_mov_b32_e32 v3, v4
; %bb.356:
	s_or_b32 exec_lo, exec_lo, s1
	v_mov_b32_dpp v8, v5 row_shr:2 row_mask:0xf bank_mask:0xf
	v_mov_b32_dpp v7, v4 row_shr:2 row_mask:0xf bank_mask:0xf
	s_mov_b32 s1, exec_lo
	v_cmpx_lt_u32_e32 1, v6
; %bb.357:
	v_add_co_u32 v5, vcc_lo, v2, v8
	v_add_co_ci_u32_e64 v2, null, 0, v3, vcc_lo
	v_add_co_u32 v3, vcc_lo, 0, v5
	v_add_co_ci_u32_e64 v4, null, v7, v2, vcc_lo
	v_mov_b32_e32 v2, v3
	v_mov_b32_e32 v3, v4
; %bb.358:
	s_or_b32 exec_lo, exec_lo, s1
	v_mov_b32_dpp v8, v5 row_shr:4 row_mask:0xf bank_mask:0xf
	v_mov_b32_dpp v7, v4 row_shr:4 row_mask:0xf bank_mask:0xf
	s_mov_b32 s1, exec_lo
	v_cmpx_lt_u32_e32 3, v6
; %bb.359:
	v_add_co_u32 v5, vcc_lo, v2, v8
	v_add_co_ci_u32_e64 v2, null, 0, v3, vcc_lo
	;; [unrolled: 13-line block ×3, first 2 shown]
	v_add_co_u32 v2, vcc_lo, 0, v5
	v_add_co_ci_u32_e64 v3, null, v7, v3, vcc_lo
	v_mov_b32_e32 v4, v3
; %bb.362:
	s_or_b32 exec_lo, exec_lo, s1
	ds_swizzle_b32 v6, v5 offset:swizzle(BROADCAST,32,15)
	ds_swizzle_b32 v4, v4 offset:swizzle(BROADCAST,32,15)
	v_and_b32_e32 v7, 16, v40
	s_mov_b32 s1, exec_lo
	v_cmpx_ne_u32_e32 0, v7
	s_cbranch_execz .LBB25_364
; %bb.363:
	s_waitcnt lgkmcnt(1)
	v_add_co_u32 v5, vcc_lo, v2, v6
	v_add_co_ci_u32_e64 v3, null, 0, v3, vcc_lo
	v_add_co_u32 v2, vcc_lo, 0, v5
	s_waitcnt lgkmcnt(0)
	v_add_co_ci_u32_e64 v3, null, v4, v3, vcc_lo
.LBB25_364:
	s_or_b32 exec_lo, exec_lo, s1
	s_waitcnt lgkmcnt(1)
	v_or_b32_e32 v6, 31, v0
	s_waitcnt lgkmcnt(0)
	v_lshrrev_b32_e32 v4, 5, v0
	s_mov_b32 s1, exec_lo
	v_cmpx_eq_u32_e64 v0, v6
; %bb.365:
	v_lshlrev_b32_e32 v6, 3, v4
	ds_write_b64 v6, v[2:3]
; %bb.366:
	s_or_b32 exec_lo, exec_lo, s1
	s_mov_b32 s1, exec_lo
	s_waitcnt lgkmcnt(0)
	s_barrier
	buffer_gl0_inv
	v_cmpx_gt_u32_e32 8, v0
	s_cbranch_execz .LBB25_374
; %bb.367:
	v_lshlrev_b32_e32 v6, 3, v0
	v_and_b32_e32 v7, 7, v40
	s_mov_b32 s2, exec_lo
	ds_read_b64 v[2:3], v6
	s_waitcnt lgkmcnt(0)
	v_mov_b32_dpp v12, v2 row_shr:1 row_mask:0xf bank_mask:0xf
	v_mov_b32_dpp v9, v3 row_shr:1 row_mask:0xf bank_mask:0xf
	v_mov_b32_e32 v8, v2
	v_cmpx_ne_u32_e32 0, v7
; %bb.368:
	v_add_co_u32 v8, vcc_lo, v2, v12
	v_add_co_ci_u32_e64 v3, null, 0, v3, vcc_lo
	v_add_co_u32 v2, vcc_lo, 0, v8
	v_add_co_ci_u32_e64 v3, null, v9, v3, vcc_lo
; %bb.369:
	s_or_b32 exec_lo, exec_lo, s2
	v_mov_b32_dpp v12, v8 row_shr:2 row_mask:0xf bank_mask:0xf
	v_mov_b32_dpp v9, v3 row_shr:2 row_mask:0xf bank_mask:0xf
	s_mov_b32 s2, exec_lo
	v_cmpx_lt_u32_e32 1, v7
; %bb.370:
	v_add_co_u32 v8, vcc_lo, v2, v12
	v_add_co_ci_u32_e64 v3, null, 0, v3, vcc_lo
	v_add_co_u32 v2, vcc_lo, 0, v8
	v_add_co_ci_u32_e64 v3, null, v9, v3, vcc_lo
; %bb.371:
	s_or_b32 exec_lo, exec_lo, s2
	v_mov_b32_dpp v9, v8 row_shr:4 row_mask:0xf bank_mask:0xf
	v_mov_b32_dpp v8, v3 row_shr:4 row_mask:0xf bank_mask:0xf
	s_mov_b32 s2, exec_lo
	v_cmpx_lt_u32_e32 3, v7
; %bb.372:
	v_add_co_u32 v2, vcc_lo, v2, v9
	v_add_co_ci_u32_e64 v3, null, 0, v3, vcc_lo
	v_add_co_u32 v2, vcc_lo, v2, 0
	v_add_co_ci_u32_e64 v3, null, v3, v8, vcc_lo
; %bb.373:
	s_or_b32 exec_lo, exec_lo, s2
	ds_write_b64 v6, v[2:3]
.LBB25_374:
	s_or_b32 exec_lo, exec_lo, s1
	s_mov_b32 s2, exec_lo
	v_cmp_gt_u32_e32 vcc_lo, 32, v0
	s_waitcnt lgkmcnt(0)
	s_barrier
	buffer_gl0_inv
                                        ; implicit-def: $vgpr12_vgpr13
	v_cmpx_lt_u32_e32 31, v0
	s_cbranch_execz .LBB25_376
; %bb.375:
	v_lshl_add_u32 v2, v4, 3, -8
	ds_read_b64 v[12:13], v2
	s_waitcnt lgkmcnt(0)
	v_add_nc_u32_e32 v5, v5, v12
.LBB25_376:
	s_or_b32 exec_lo, exec_lo, s2
	v_sub_co_u32 v2, s1, v40, 1
	v_cmp_gt_i32_e64 s2, 0, v2
	v_cndmask_b32_e64 v2, v2, v40, s2
	v_lshlrev_b32_e32 v2, 2, v2
	ds_bpermute_b32 v41, v2, v5
	s_and_saveexec_b32 s2, vcc_lo
	s_cbranch_execz .LBB25_416
; %bb.377:
	v_mov_b32_e32 v5, 0
	ds_read_b64 v[2:3], v5 offset:56
	s_and_saveexec_b32 s3, s1
	s_cbranch_execz .LBB25_379
; %bb.378:
	s_add_i32 s4, s20, 32
	s_mov_b32 s5, 0
	v_mov_b32_e32 v4, 1
	s_lshl_b64 s[4:5], s[4:5], 4
	s_add_u32 s4, s16, s4
	s_addc_u32 s5, s17, s5
	v_mov_b32_e32 v7, s5
	v_mov_b32_e32 v6, s4
	s_waitcnt lgkmcnt(0)
	;;#ASMSTART
	global_store_dwordx4 v[6:7], v[2:5] off	
s_waitcnt vmcnt(0)
	;;#ASMEND
.LBB25_379:
	s_or_b32 exec_lo, exec_lo, s3
	v_xad_u32 v14, v40, -1, s20
	s_mov_b32 s4, 0
	v_add_nc_u32_e32 v4, 32, v14
	v_lshlrev_b64 v[6:7], 4, v[4:5]
	v_add_co_u32 v15, vcc_lo, s16, v6
	v_add_co_ci_u32_e64 v16, null, s17, v7, vcc_lo
	;;#ASMSTART
	global_load_dwordx4 v[6:9], v[15:16] off glc dlc	
s_waitcnt vmcnt(0)
	;;#ASMEND
	v_cmp_eq_u16_sdwa s5, v8, v5 src0_sel:BYTE_0 src1_sel:DWORD
	s_and_saveexec_b32 s3, s5
	s_cbranch_execz .LBB25_383
; %bb.380:
	v_mov_b32_e32 v4, 0
.LBB25_381:                             ; =>This Inner Loop Header: Depth=1
	;;#ASMSTART
	global_load_dwordx4 v[6:9], v[15:16] off glc dlc	
s_waitcnt vmcnt(0)
	;;#ASMEND
	v_cmp_ne_u16_sdwa s5, v8, v4 src0_sel:BYTE_0 src1_sel:DWORD
	s_or_b32 s4, s5, s4
	s_andn2_b32 exec_lo, exec_lo, s4
	s_cbranch_execnz .LBB25_381
; %bb.382:
	s_or_b32 exec_lo, exec_lo, s4
.LBB25_383:
	s_or_b32 exec_lo, exec_lo, s3
	v_cmp_ne_u32_e32 vcc_lo, 31, v40
	v_mov_b32_e32 v5, 2
	v_lshlrev_b32_e64 v43, v40, -1
	v_add_co_ci_u32_e64 v4, null, 0, v40, vcc_lo
	v_cmp_eq_u16_sdwa s3, v8, v5 src0_sel:BYTE_0 src1_sel:DWORD
	v_mov_b32_e32 v5, v6
	v_lshlrev_b32_e32 v42, 2, v4
	v_and_or_b32 v4, s3, v43, 0x80000000
	s_mov_b32 s3, exec_lo
	ds_bpermute_b32 v15, v42, v6
	ds_bpermute_b32 v9, v42, v7
	v_ffbl_b32_e32 v4, v4
	v_cmpx_lt_u32_e64 v40, v4
	s_cbranch_execz .LBB25_385
; %bb.384:
	s_waitcnt lgkmcnt(1)
	v_add_co_u32 v5, vcc_lo, v6, v15
	v_add_co_ci_u32_e64 v7, null, 0, v7, vcc_lo
	v_add_co_u32 v6, vcc_lo, 0, v5
	s_waitcnt lgkmcnt(0)
	v_add_co_ci_u32_e64 v7, null, v9, v7, vcc_lo
.LBB25_385:
	s_or_b32 exec_lo, exec_lo, s3
	v_cmp_gt_u32_e32 vcc_lo, 30, v40
	v_add_nc_u32_e32 v45, 2, v40
	s_mov_b32 s3, exec_lo
	s_waitcnt lgkmcnt(0)
	v_cndmask_b32_e64 v9, 0, 2, vcc_lo
	v_add_lshl_u32 v44, v9, v40, 2
	ds_bpermute_b32 v15, v44, v5
	ds_bpermute_b32 v9, v44, v7
	v_cmpx_le_u32_e64 v45, v4
	s_cbranch_execz .LBB25_387
; %bb.386:
	s_waitcnt lgkmcnt(1)
	v_add_co_u32 v5, vcc_lo, v6, v15
	v_add_co_ci_u32_e64 v7, null, 0, v7, vcc_lo
	v_add_co_u32 v6, vcc_lo, 0, v5
	s_waitcnt lgkmcnt(0)
	v_add_co_ci_u32_e64 v7, null, v9, v7, vcc_lo
.LBB25_387:
	s_or_b32 exec_lo, exec_lo, s3
	v_cmp_gt_u32_e32 vcc_lo, 28, v40
	v_add_nc_u32_e32 v47, 4, v40
	s_mov_b32 s3, exec_lo
	s_waitcnt lgkmcnt(0)
	v_cndmask_b32_e64 v9, 0, 4, vcc_lo
	v_add_lshl_u32 v46, v9, v40, 2
	ds_bpermute_b32 v15, v46, v5
	ds_bpermute_b32 v9, v46, v7
	v_cmpx_le_u32_e64 v47, v4
	;; [unrolled: 19-line block ×3, first 2 shown]
	s_cbranch_execz .LBB25_391
; %bb.390:
	s_waitcnt lgkmcnt(1)
	v_add_co_u32 v5, vcc_lo, v6, v15
	v_add_co_ci_u32_e64 v7, null, 0, v7, vcc_lo
	v_add_co_u32 v6, vcc_lo, 0, v5
	s_waitcnt lgkmcnt(0)
	v_add_co_ci_u32_e64 v7, null, v9, v7, vcc_lo
.LBB25_391:
	s_or_b32 exec_lo, exec_lo, s3
	v_lshl_or_b32 v50, v40, 2, 64
	v_add_nc_u32_e32 v51, 16, v40
	s_mov_b32 s3, exec_lo
	s_waitcnt lgkmcnt(0)
	ds_bpermute_b32 v9, v50, v5
	ds_bpermute_b32 v5, v50, v7
	v_cmpx_le_u32_e64 v51, v4
	s_cbranch_execz .LBB25_393
; %bb.392:
	s_waitcnt lgkmcnt(1)
	v_add_co_u32 v4, vcc_lo, v6, v9
	v_add_co_ci_u32_e64 v7, null, 0, v7, vcc_lo
	v_add_co_u32 v6, vcc_lo, v4, 0
	s_waitcnt lgkmcnt(0)
	v_add_co_ci_u32_e64 v7, null, v7, v5, vcc_lo
.LBB25_393:
	s_or_b32 exec_lo, exec_lo, s3
	v_mov_b32_e32 v15, 0
	v_mov_b32_e32 v52, 2
	s_branch .LBB25_396
.LBB25_394:                             ;   in Loop: Header=BB25_396 Depth=1
	s_or_b32 exec_lo, exec_lo, s3
	v_add_co_u32 v6, vcc_lo, v6, v4
	v_subrev_nc_u32_e32 v14, 32, v14
	v_add_co_ci_u32_e64 v7, null, v7, v5, vcc_lo
	s_mov_b32 s3, 0
.LBB25_395:                             ;   in Loop: Header=BB25_396 Depth=1
	s_and_b32 vcc_lo, exec_lo, s3
	s_cbranch_vccnz .LBB25_412
.LBB25_396:                             ; =>This Loop Header: Depth=1
                                        ;     Child Loop BB25_399 Depth 2
	v_cmp_ne_u16_sdwa s3, v8, v52 src0_sel:BYTE_0 src1_sel:DWORD
	s_waitcnt lgkmcnt(0)
	v_mov_b32_e32 v4, v6
	v_mov_b32_e32 v5, v7
                                        ; implicit-def: $vgpr6_vgpr7
	s_cmp_lg_u32 s3, exec_lo
	s_mov_b32 s3, -1
	s_cbranch_scc1 .LBB25_395
; %bb.397:                              ;   in Loop: Header=BB25_396 Depth=1
	v_lshlrev_b64 v[6:7], 4, v[14:15]
	v_add_co_u32 v16, vcc_lo, s16, v6
	v_add_co_ci_u32_e64 v17, null, s17, v7, vcc_lo
	;;#ASMSTART
	global_load_dwordx4 v[6:9], v[16:17] off glc dlc	
s_waitcnt vmcnt(0)
	;;#ASMEND
	v_cmp_eq_u16_sdwa s4, v8, v15 src0_sel:BYTE_0 src1_sel:DWORD
	s_and_saveexec_b32 s3, s4
	s_cbranch_execz .LBB25_401
; %bb.398:                              ;   in Loop: Header=BB25_396 Depth=1
	s_mov_b32 s4, 0
.LBB25_399:                             ;   Parent Loop BB25_396 Depth=1
                                        ; =>  This Inner Loop Header: Depth=2
	;;#ASMSTART
	global_load_dwordx4 v[6:9], v[16:17] off glc dlc	
s_waitcnt vmcnt(0)
	;;#ASMEND
	v_cmp_ne_u16_sdwa s5, v8, v15 src0_sel:BYTE_0 src1_sel:DWORD
	s_or_b32 s4, s5, s4
	s_andn2_b32 exec_lo, exec_lo, s4
	s_cbranch_execnz .LBB25_399
; %bb.400:                              ;   in Loop: Header=BB25_396 Depth=1
	s_or_b32 exec_lo, exec_lo, s4
.LBB25_401:                             ;   in Loop: Header=BB25_396 Depth=1
	s_or_b32 exec_lo, exec_lo, s3
	ds_bpermute_b32 v53, v42, v6
	ds_bpermute_b32 v17, v42, v7
	v_cmp_eq_u16_sdwa s3, v8, v52 src0_sel:BYTE_0 src1_sel:DWORD
	v_mov_b32_e32 v16, v6
	v_and_or_b32 v9, s3, v43, 0x80000000
	s_mov_b32 s3, exec_lo
	v_ffbl_b32_e32 v9, v9
	v_cmpx_lt_u32_e64 v40, v9
	s_cbranch_execz .LBB25_403
; %bb.402:                              ;   in Loop: Header=BB25_396 Depth=1
	s_waitcnt lgkmcnt(1)
	v_add_co_u32 v16, vcc_lo, v6, v53
	v_add_co_ci_u32_e64 v7, null, 0, v7, vcc_lo
	v_add_co_u32 v6, vcc_lo, 0, v16
	s_waitcnt lgkmcnt(0)
	v_add_co_ci_u32_e64 v7, null, v17, v7, vcc_lo
.LBB25_403:                             ;   in Loop: Header=BB25_396 Depth=1
	s_or_b32 exec_lo, exec_lo, s3
	s_waitcnt lgkmcnt(1)
	ds_bpermute_b32 v53, v44, v16
	s_waitcnt lgkmcnt(1)
	ds_bpermute_b32 v17, v44, v7
	s_mov_b32 s3, exec_lo
	v_cmpx_le_u32_e64 v45, v9
	s_cbranch_execz .LBB25_405
; %bb.404:                              ;   in Loop: Header=BB25_396 Depth=1
	s_waitcnt lgkmcnt(1)
	v_add_co_u32 v16, vcc_lo, v6, v53
	v_add_co_ci_u32_e64 v7, null, 0, v7, vcc_lo
	v_add_co_u32 v6, vcc_lo, 0, v16
	s_waitcnt lgkmcnt(0)
	v_add_co_ci_u32_e64 v7, null, v17, v7, vcc_lo
.LBB25_405:                             ;   in Loop: Header=BB25_396 Depth=1
	s_or_b32 exec_lo, exec_lo, s3
	s_waitcnt lgkmcnt(1)
	ds_bpermute_b32 v53, v46, v16
	s_waitcnt lgkmcnt(1)
	ds_bpermute_b32 v17, v46, v7
	s_mov_b32 s3, exec_lo
	v_cmpx_le_u32_e64 v47, v9
	;; [unrolled: 16-line block ×3, first 2 shown]
	s_cbranch_execz .LBB25_409
; %bb.408:                              ;   in Loop: Header=BB25_396 Depth=1
	s_waitcnt lgkmcnt(1)
	v_add_co_u32 v16, vcc_lo, v6, v53
	v_add_co_ci_u32_e64 v7, null, 0, v7, vcc_lo
	v_add_co_u32 v6, vcc_lo, 0, v16
	s_waitcnt lgkmcnt(0)
	v_add_co_ci_u32_e64 v7, null, v17, v7, vcc_lo
.LBB25_409:                             ;   in Loop: Header=BB25_396 Depth=1
	s_or_b32 exec_lo, exec_lo, s3
	s_waitcnt lgkmcnt(0)
	ds_bpermute_b32 v17, v50, v16
	ds_bpermute_b32 v16, v50, v7
	s_mov_b32 s3, exec_lo
	v_cmpx_le_u32_e64 v51, v9
	s_cbranch_execz .LBB25_394
; %bb.410:                              ;   in Loop: Header=BB25_396 Depth=1
	s_waitcnt lgkmcnt(1)
	v_add_co_u32 v6, vcc_lo, v6, v17
	v_add_co_ci_u32_e64 v7, null, 0, v7, vcc_lo
	v_add_co_u32 v6, vcc_lo, v6, 0
	s_waitcnt lgkmcnt(0)
	v_add_co_ci_u32_e64 v7, null, v7, v16, vcc_lo
	s_branch .LBB25_394
.LBB25_411:
                                        ; implicit-def: $vgpr4_vgpr5
                                        ; implicit-def: $vgpr6_vgpr7
	s_cbranch_execnz .LBB25_417
	s_branch .LBB25_442
.LBB25_412:
	s_and_saveexec_b32 s3, s1
	s_cbranch_execz .LBB25_414
; %bb.413:
	s_add_i32 s4, s20, 32
	s_mov_b32 s5, 0
	v_add_co_u32 v6, vcc_lo, v4, v2
	s_lshl_b64 s[4:5], s[4:5], 4
	v_mov_b32_e32 v9, 0
	s_add_u32 s4, s16, s4
	s_addc_u32 s5, s17, s5
	v_add_co_ci_u32_e64 v7, null, v5, v3, vcc_lo
	v_mov_b32_e32 v15, s5
	v_mov_b32_e32 v8, 2
	;; [unrolled: 1-line block ×3, first 2 shown]
	;;#ASMSTART
	global_store_dwordx4 v[14:15], v[6:9] off	
s_waitcnt vmcnt(0)
	;;#ASMEND
	ds_write_b128 v9, v[2:5] offset:64
.LBB25_414:
	s_or_b32 exec_lo, exec_lo, s3
	s_and_b32 exec_lo, exec_lo, s0
; %bb.415:
	v_mov_b32_e32 v2, 0
	ds_write_b64 v2, v[4:5] offset:56
.LBB25_416:
	s_or_b32 exec_lo, exec_lo, s2
	v_mov_b32_e32 v2, 0
	s_waitcnt lgkmcnt(0)
	s_barrier
	buffer_gl0_inv
	v_cndmask_b32_e64 v8, 0, v13, s1
	ds_read_b64 v[6:7], v2 offset:56
	s_waitcnt lgkmcnt(0)
	s_barrier
	buffer_gl0_inv
	ds_read_b128 v[2:5], v2 offset:64
	s_waitcnt lgkmcnt(0)
	v_cndmask_b32_e64 v3, v41, v12, s1
	v_cndmask_b32_e64 v8, v8, 0, s0
	;; [unrolled: 1-line block ×3, first 2 shown]
	v_add_co_u32 v6, vcc_lo, v6, v3
	v_add_co_ci_u32_e64 v3, null, v7, v8, vcc_lo
	s_branch .LBB25_442
.LBB25_417:
	v_mov_b32_e32 v4, 0
	v_mov_b32_e32 v2, v10
	v_and_b32_e32 v5, 15, v40
	v_mov_b32_dpp v7, v10 row_shr:1 row_mask:0xf bank_mask:0xf
	v_mov_b32_e32 v3, v11
	v_mov_b32_dpp v6, v4 row_shr:1 row_mask:0xf bank_mask:0xf
	s_mov_b32 s1, exec_lo
	v_cmpx_ne_u32_e32 0, v5
; %bb.418:
	v_add_co_u32 v10, s2, v7, v10
	v_add_co_ci_u32_e64 v2, null, 0, 0, s2
	v_add_co_u32 v3, vcc_lo, 0, v10
	v_add_co_ci_u32_e64 v4, null, v6, v2, vcc_lo
	v_mov_b32_e32 v2, v3
	v_mov_b32_e32 v3, v4
; %bb.419:
	s_or_b32 exec_lo, exec_lo, s1
	v_mov_b32_dpp v7, v10 row_shr:2 row_mask:0xf bank_mask:0xf
	v_mov_b32_dpp v6, v4 row_shr:2 row_mask:0xf bank_mask:0xf
	s_mov_b32 s1, exec_lo
	v_cmpx_lt_u32_e32 1, v5
; %bb.420:
	v_add_co_u32 v10, vcc_lo, v2, v7
	v_add_co_ci_u32_e64 v2, null, 0, v3, vcc_lo
	v_add_co_u32 v3, vcc_lo, 0, v10
	v_add_co_ci_u32_e64 v4, null, v6, v2, vcc_lo
	v_mov_b32_e32 v2, v3
	v_mov_b32_e32 v3, v4
; %bb.421:
	s_or_b32 exec_lo, exec_lo, s1
	v_mov_b32_dpp v7, v10 row_shr:4 row_mask:0xf bank_mask:0xf
	v_mov_b32_dpp v6, v4 row_shr:4 row_mask:0xf bank_mask:0xf
	s_mov_b32 s1, exec_lo
	v_cmpx_lt_u32_e32 3, v5
; %bb.422:
	v_add_co_u32 v10, vcc_lo, v2, v7
	v_add_co_ci_u32_e64 v2, null, 0, v3, vcc_lo
	;; [unrolled: 13-line block ×3, first 2 shown]
	v_add_co_u32 v2, vcc_lo, 0, v10
	v_add_co_ci_u32_e64 v3, null, v6, v3, vcc_lo
	v_mov_b32_e32 v4, v3
; %bb.425:
	s_or_b32 exec_lo, exec_lo, s1
	ds_swizzle_b32 v5, v10 offset:swizzle(BROADCAST,32,15)
	ds_swizzle_b32 v4, v4 offset:swizzle(BROADCAST,32,15)
	v_and_b32_e32 v6, 16, v40
	s_mov_b32 s1, exec_lo
	v_cmpx_ne_u32_e32 0, v6
	s_cbranch_execz .LBB25_427
; %bb.426:
	s_waitcnt lgkmcnt(1)
	v_add_co_u32 v10, vcc_lo, v2, v5
	v_add_co_ci_u32_e64 v3, null, 0, v3, vcc_lo
	v_add_co_u32 v2, vcc_lo, 0, v10
	s_waitcnt lgkmcnt(0)
	v_add_co_ci_u32_e64 v3, null, v4, v3, vcc_lo
.LBB25_427:
	s_or_b32 exec_lo, exec_lo, s1
	s_waitcnt lgkmcnt(0)
	v_or_b32_e32 v4, 31, v0
	v_lshrrev_b32_e32 v6, 5, v0
	s_mov_b32 s1, exec_lo
	v_cmpx_eq_u32_e64 v0, v4
; %bb.428:
	v_lshlrev_b32_e32 v4, 3, v6
	ds_write_b64 v4, v[2:3]
; %bb.429:
	s_or_b32 exec_lo, exec_lo, s1
	s_mov_b32 s1, exec_lo
	s_waitcnt lgkmcnt(0)
	s_barrier
	buffer_gl0_inv
	v_cmpx_gt_u32_e32 8, v0
	s_cbranch_execz .LBB25_437
; %bb.430:
	v_lshlrev_b32_e32 v4, 3, v0
	v_and_b32_e32 v5, 7, v40
	s_mov_b32 s2, exec_lo
	ds_read_b64 v[2:3], v4
	s_waitcnt lgkmcnt(0)
	v_mov_b32_dpp v9, v2 row_shr:1 row_mask:0xf bank_mask:0xf
	v_mov_b32_dpp v8, v3 row_shr:1 row_mask:0xf bank_mask:0xf
	v_mov_b32_e32 v7, v2
	v_cmpx_ne_u32_e32 0, v5
; %bb.431:
	v_add_co_u32 v7, vcc_lo, v2, v9
	v_add_co_ci_u32_e64 v3, null, 0, v3, vcc_lo
	v_add_co_u32 v2, vcc_lo, 0, v7
	v_add_co_ci_u32_e64 v3, null, v8, v3, vcc_lo
; %bb.432:
	s_or_b32 exec_lo, exec_lo, s2
	v_mov_b32_dpp v9, v7 row_shr:2 row_mask:0xf bank_mask:0xf
	v_mov_b32_dpp v8, v3 row_shr:2 row_mask:0xf bank_mask:0xf
	s_mov_b32 s2, exec_lo
	v_cmpx_lt_u32_e32 1, v5
; %bb.433:
	v_add_co_u32 v7, vcc_lo, v2, v9
	v_add_co_ci_u32_e64 v3, null, 0, v3, vcc_lo
	v_add_co_u32 v2, vcc_lo, 0, v7
	v_add_co_ci_u32_e64 v3, null, v8, v3, vcc_lo
; %bb.434:
	s_or_b32 exec_lo, exec_lo, s2
	v_mov_b32_dpp v8, v7 row_shr:4 row_mask:0xf bank_mask:0xf
	v_mov_b32_dpp v7, v3 row_shr:4 row_mask:0xf bank_mask:0xf
	s_mov_b32 s2, exec_lo
	v_cmpx_lt_u32_e32 3, v5
; %bb.435:
	v_add_co_u32 v2, vcc_lo, v2, v8
	v_add_co_ci_u32_e64 v3, null, 0, v3, vcc_lo
	v_add_co_u32 v2, vcc_lo, v2, 0
	v_add_co_ci_u32_e64 v3, null, v3, v7, vcc_lo
; %bb.436:
	s_or_b32 exec_lo, exec_lo, s2
	ds_write_b64 v4, v[2:3]
.LBB25_437:
	s_or_b32 exec_lo, exec_lo, s1
	s_mov_b32 s1, exec_lo
	v_mov_b32_e32 v4, 0
	v_mov_b32_e32 v5, 0
	s_waitcnt lgkmcnt(0)
	s_barrier
	buffer_gl0_inv
	v_cmpx_lt_u32_e32 31, v0
; %bb.438:
	v_lshl_add_u32 v2, v6, 3, -8
	ds_read_b64 v[4:5], v2
; %bb.439:
	s_or_b32 exec_lo, exec_lo, s1
	v_sub_co_u32 v2, vcc_lo, v40, 1
	s_waitcnt lgkmcnt(0)
	v_add_nc_u32_e32 v3, v10, v4
	v_mov_b32_e32 v5, 0
	v_cmp_gt_i32_e64 s1, 0, v2
	v_cndmask_b32_e64 v2, v2, v40, s1
	v_lshlrev_b32_e32 v2, 2, v2
	ds_bpermute_b32 v6, v2, v3
	ds_read_b64 v[2:3], v5 offset:56
	s_waitcnt lgkmcnt(1)
	v_cndmask_b32_e32 v6, v6, v4, vcc_lo
	s_and_saveexec_b32 s1, s0
	s_cbranch_execz .LBB25_441
; %bb.440:
	s_add_u32 s2, s16, 0x200
	s_addc_u32 s3, s17, 0
	v_mov_b32_e32 v4, 2
	v_mov_b32_e32 v8, s3
	;; [unrolled: 1-line block ×3, first 2 shown]
	s_waitcnt lgkmcnt(0)
	;;#ASMSTART
	global_store_dwordx4 v[7:8], v[2:5] off	
s_waitcnt vmcnt(0)
	;;#ASMEND
.LBB25_441:
	s_or_b32 exec_lo, exec_lo, s1
	v_mov_b32_e32 v4, 0
	v_mov_b32_e32 v5, 0
.LBB25_442:
	s_waitcnt lgkmcnt(0)
	v_sub_nc_u32_e32 v3, v6, v4
	s_barrier
	buffer_gl0_inv
	s_and_saveexec_b32 s0, s13
	s_cbranch_execnz .LBB25_473
; %bb.443:
	s_or_b32 exec_lo, exec_lo, s0
	s_and_saveexec_b32 s0, s11
	s_cbranch_execnz .LBB25_474
.LBB25_444:
	s_or_b32 exec_lo, exec_lo, s0
	s_and_saveexec_b32 s0, s14
	s_cbranch_execnz .LBB25_475
.LBB25_445:
	s_or_b32 exec_lo, exec_lo, s0
	s_and_saveexec_b32 s0, s10
	s_cbranch_execnz .LBB25_476
.LBB25_446:
	s_or_b32 exec_lo, exec_lo, s0
	s_and_saveexec_b32 s0, s9
	s_cbranch_execnz .LBB25_477
.LBB25_447:
	s_or_b32 exec_lo, exec_lo, s0
	s_and_saveexec_b32 s0, s8
.LBB25_448:
	v_lshlrev_b32_e32 v6, 2, v3
	v_add_nc_u32_e32 v3, 1, v3
	ds_write_b32 v6, v23 offset:1024
.LBB25_449:
	s_or_b32 exec_lo, exec_lo, s0
	v_and_b32_e32 v6, 64, v39
	s_mov_b32 s0, exec_lo
	v_cmpx_ne_u32_e32 0, v6
; %bb.450:
	v_lshlrev_b32_e32 v6, 2, v3
	v_add_nc_u32_e32 v3, 1, v3
	ds_write_b32 v6, v24 offset:1024
; %bb.451:
	s_or_b32 exec_lo, exec_lo, s0
	v_and_b32_e32 v6, 0x80, v38
	s_mov_b32 s0, exec_lo
	v_cmpx_ne_u32_e32 0, v6
; %bb.452:
	v_lshlrev_b32_e32 v6, 2, v3
	v_add_nc_u32_e32 v3, 1, v3
	ds_write_b32 v6, v25 offset:1024
; %bb.453:
	s_or_b32 exec_lo, exec_lo, s0
	v_and_b32_e32 v6, 0x100, v37
	s_mov_b32 s0, exec_lo
	v_cmpx_ne_u32_e32 0, v6
; %bb.454:
	v_lshlrev_b32_e32 v6, 2, v3
	v_add_nc_u32_e32 v3, 1, v3
	ds_write_b32 v6, v26 offset:1024
; %bb.455:
	s_or_b32 exec_lo, exec_lo, s0
	v_and_b32_e32 v6, 0x200, v37
	s_mov_b32 s0, exec_lo
	v_cmpx_ne_u32_e32 0, v6
; %bb.456:
	v_lshlrev_b32_e32 v6, 2, v3
	v_add_nc_u32_e32 v3, 1, v3
	ds_write_b32 v6, v27 offset:1024
; %bb.457:
	s_or_b32 exec_lo, exec_lo, s0
	v_and_b32_e32 v6, 0x400, v36
	s_mov_b32 s0, exec_lo
	v_cmpx_ne_u32_e32 0, v6
; %bb.458:
	v_lshlrev_b32_e32 v6, 2, v3
	v_add_nc_u32_e32 v3, 1, v3
	ds_write_b32 v6, v28 offset:1024
; %bb.459:
	s_or_b32 exec_lo, exec_lo, s0
	v_and_b32_e32 v6, 0x800, v36
	s_mov_b32 s0, exec_lo
	v_cmpx_ne_u32_e32 0, v6
; %bb.460:
	v_lshlrev_b32_e32 v6, 2, v3
	v_add_nc_u32_e32 v3, 1, v3
	ds_write_b32 v6, v29 offset:1024
; %bb.461:
	s_or_b32 exec_lo, exec_lo, s0
	v_and_b32_e32 v6, 0x1000, v35
	s_mov_b32 s0, exec_lo
	v_cmpx_ne_u32_e32 0, v6
; %bb.462:
	v_lshlrev_b32_e32 v6, 2, v3
	v_add_nc_u32_e32 v3, 1, v3
	ds_write_b32 v6, v30 offset:1024
; %bb.463:
	s_or_b32 exec_lo, exec_lo, s0
	v_and_b32_e32 v6, 0x2000, v35
	s_mov_b32 s0, exec_lo
	v_cmpx_ne_u32_e32 0, v6
; %bb.464:
	v_lshlrev_b32_e32 v6, 2, v3
	v_add_nc_u32_e32 v3, 1, v3
	ds_write_b32 v6, v31 offset:1024
; %bb.465:
	s_or_b32 exec_lo, exec_lo, s0
	v_and_b32_e32 v6, 0x4000, v34
	s_mov_b32 s0, exec_lo
	v_cmpx_ne_u32_e32 0, v6
; %bb.466:
	v_lshlrev_b32_e32 v6, 2, v3
	v_add_nc_u32_e32 v3, 1, v3
	ds_write_b32 v6, v32 offset:1024
; %bb.467:
	s_or_b32 exec_lo, exec_lo, s0
	v_and_b32_e32 v6, 0x8000, v34
	s_mov_b32 s0, exec_lo
	v_cmpx_ne_u32_e32 0, v6
; %bb.468:
	v_lshlrev_b32_e32 v3, 2, v3
	ds_write_b32 v3, v33 offset:1024
; %bb.469:
	s_or_b32 exec_lo, exec_lo, s0
	s_waitcnt lgkmcnt(0)
	s_barrier
	buffer_gl0_inv
	s_mov_b32 s0, exec_lo
	v_cmpx_lt_i32_e64 v0, v2
	s_cbranch_execz .LBB25_472
; %bb.470:
	v_lshlrev_b64 v[3:4], 2, v[4:5]
	v_lshlrev_b64 v[5:6], 2, v[0:1]
	v_lshl_or_b32 v1, v0, 2, 0x400
	s_mov_b32 s1, 0
	v_add_co_u32 v3, vcc_lo, s18, v3
	v_add_co_ci_u32_e64 v4, null, s19, v4, vcc_lo
	v_add_co_u32 v3, vcc_lo, v3, v5
	v_add_co_ci_u32_e64 v4, null, v4, v6, vcc_lo
	.p2align	6
.LBB25_471:                             ; =>This Inner Loop Header: Depth=1
	ds_read_b32 v5, v1
	v_add_nc_u32_e32 v0, 0x100, v0
	v_add_nc_u32_e32 v1, 0x400, v1
	v_cmp_ge_i32_e32 vcc_lo, v0, v2
	s_or_b32 s1, vcc_lo, s1
	s_waitcnt lgkmcnt(0)
	global_store_dword v[3:4], v5, off
	v_add_co_u32 v3, s0, 0x400, v3
	v_add_co_ci_u32_e64 v4, null, 0, v4, s0
	s_andn2_b32 exec_lo, exec_lo, s1
	s_cbranch_execnz .LBB25_471
.LBB25_472:
	s_endpgm
.LBB25_473:
	v_add_nc_u32_e32 v6, 1, v3
	v_lshlrev_b32_e32 v7, 2, v3
	v_mov_b32_e32 v3, v6
	ds_write_b32 v7, v18 offset:1024
	s_or_b32 exec_lo, exec_lo, s0
	s_and_saveexec_b32 s0, s11
	s_cbranch_execz .LBB25_444
.LBB25_474:
	v_lshlrev_b32_e32 v6, 2, v3
	v_add_nc_u32_e32 v3, 1, v3
	ds_write_b32 v6, v19 offset:1024
	s_or_b32 exec_lo, exec_lo, s0
	s_and_saveexec_b32 s0, s14
	s_cbranch_execz .LBB25_445
.LBB25_475:
	v_lshlrev_b32_e32 v6, 2, v3
	v_add_nc_u32_e32 v3, 1, v3
	ds_write_b32 v6, v20 offset:1024
	s_or_b32 exec_lo, exec_lo, s0
	s_and_saveexec_b32 s0, s10
	s_cbranch_execz .LBB25_446
.LBB25_476:
	v_lshlrev_b32_e32 v6, 2, v3
	v_add_nc_u32_e32 v3, 1, v3
	ds_write_b32 v6, v21 offset:1024
	s_or_b32 exec_lo, exec_lo, s0
	s_and_saveexec_b32 s0, s9
	s_cbranch_execz .LBB25_447
.LBB25_477:
	v_lshlrev_b32_e32 v6, 2, v3
	v_add_nc_u32_e32 v3, 1, v3
	ds_write_b32 v6, v22 offset:1024
	s_or_b32 exec_lo, exec_lo, s0
	s_and_saveexec_b32 s0, s8
	s_cbranch_execnz .LBB25_448
	s_branch .LBB25_449
	.section	.rodata,"a",@progbits
	.p2align	6, 0x0
	.amdhsa_kernel _ZN6thrust23THRUST_200600_302600_NS11hip_rocprim16__set_operations22lookback_set_op_kernelIN7rocprim17ROCPRIM_400000_NS13kernel_configILj256ELj16ELj4294967295EEELb0ENS0_6detail15normal_iteratorINS0_10device_ptrIKiEEEESD_PiSE_lNS9_INSA_IiEEEESE_NS0_4lessIiEENS2_21serial_set_differenceENS5_6detail19lookback_scan_stateIlLb0ELb1EEEEEvT1_T2_T3_T4_T6_T7_T8_T9_PNS0_4pairIT5_SW_EEPSW_T10_NSK_16ordered_block_idIjEE
		.amdhsa_group_segment_fixed_size 36868
		.amdhsa_private_segment_fixed_size 0
		.amdhsa_kernarg_size 344
		.amdhsa_user_sgpr_count 6
		.amdhsa_user_sgpr_private_segment_buffer 1
		.amdhsa_user_sgpr_dispatch_ptr 0
		.amdhsa_user_sgpr_queue_ptr 0
		.amdhsa_user_sgpr_kernarg_segment_ptr 1
		.amdhsa_user_sgpr_dispatch_id 0
		.amdhsa_user_sgpr_flat_scratch_init 0
		.amdhsa_user_sgpr_private_segment_size 0
		.amdhsa_wavefront_size32 1
		.amdhsa_uses_dynamic_stack 0
		.amdhsa_system_sgpr_private_segment_wavefront_offset 0
		.amdhsa_system_sgpr_workgroup_id_x 1
		.amdhsa_system_sgpr_workgroup_id_y 0
		.amdhsa_system_sgpr_workgroup_id_z 0
		.amdhsa_system_sgpr_workgroup_info 0
		.amdhsa_system_vgpr_workitem_id 2
		.amdhsa_next_free_vgpr 145
		.amdhsa_next_free_sgpr 39
		.amdhsa_reserve_vcc 1
		.amdhsa_reserve_flat_scratch 0
		.amdhsa_float_round_mode_32 0
		.amdhsa_float_round_mode_16_64 0
		.amdhsa_float_denorm_mode_32 3
		.amdhsa_float_denorm_mode_16_64 3
		.amdhsa_dx10_clamp 1
		.amdhsa_ieee_mode 1
		.amdhsa_fp16_overflow 0
		.amdhsa_workgroup_processor_mode 1
		.amdhsa_memory_ordered 1
		.amdhsa_forward_progress 1
		.amdhsa_shared_vgpr_count 0
		.amdhsa_exception_fp_ieee_invalid_op 0
		.amdhsa_exception_fp_denorm_src 0
		.amdhsa_exception_fp_ieee_div_zero 0
		.amdhsa_exception_fp_ieee_overflow 0
		.amdhsa_exception_fp_ieee_underflow 0
		.amdhsa_exception_fp_ieee_inexact 0
		.amdhsa_exception_int_div_zero 0
	.end_amdhsa_kernel
	.section	.text._ZN6thrust23THRUST_200600_302600_NS11hip_rocprim16__set_operations22lookback_set_op_kernelIN7rocprim17ROCPRIM_400000_NS13kernel_configILj256ELj16ELj4294967295EEELb0ENS0_6detail15normal_iteratorINS0_10device_ptrIKiEEEESD_PiSE_lNS9_INSA_IiEEEESE_NS0_4lessIiEENS2_21serial_set_differenceENS5_6detail19lookback_scan_stateIlLb0ELb1EEEEEvT1_T2_T3_T4_T6_T7_T8_T9_PNS0_4pairIT5_SW_EEPSW_T10_NSK_16ordered_block_idIjEE,"axG",@progbits,_ZN6thrust23THRUST_200600_302600_NS11hip_rocprim16__set_operations22lookback_set_op_kernelIN7rocprim17ROCPRIM_400000_NS13kernel_configILj256ELj16ELj4294967295EEELb0ENS0_6detail15normal_iteratorINS0_10device_ptrIKiEEEESD_PiSE_lNS9_INSA_IiEEEESE_NS0_4lessIiEENS2_21serial_set_differenceENS5_6detail19lookback_scan_stateIlLb0ELb1EEEEEvT1_T2_T3_T4_T6_T7_T8_T9_PNS0_4pairIT5_SW_EEPSW_T10_NSK_16ordered_block_idIjEE,comdat
.Lfunc_end25:
	.size	_ZN6thrust23THRUST_200600_302600_NS11hip_rocprim16__set_operations22lookback_set_op_kernelIN7rocprim17ROCPRIM_400000_NS13kernel_configILj256ELj16ELj4294967295EEELb0ENS0_6detail15normal_iteratorINS0_10device_ptrIKiEEEESD_PiSE_lNS9_INSA_IiEEEESE_NS0_4lessIiEENS2_21serial_set_differenceENS5_6detail19lookback_scan_stateIlLb0ELb1EEEEEvT1_T2_T3_T4_T6_T7_T8_T9_PNS0_4pairIT5_SW_EEPSW_T10_NSK_16ordered_block_idIjEE, .Lfunc_end25-_ZN6thrust23THRUST_200600_302600_NS11hip_rocprim16__set_operations22lookback_set_op_kernelIN7rocprim17ROCPRIM_400000_NS13kernel_configILj256ELj16ELj4294967295EEELb0ENS0_6detail15normal_iteratorINS0_10device_ptrIKiEEEESD_PiSE_lNS9_INSA_IiEEEESE_NS0_4lessIiEENS2_21serial_set_differenceENS5_6detail19lookback_scan_stateIlLb0ELb1EEEEEvT1_T2_T3_T4_T6_T7_T8_T9_PNS0_4pairIT5_SW_EEPSW_T10_NSK_16ordered_block_idIjEE
                                        ; -- End function
	.set _ZN6thrust23THRUST_200600_302600_NS11hip_rocprim16__set_operations22lookback_set_op_kernelIN7rocprim17ROCPRIM_400000_NS13kernel_configILj256ELj16ELj4294967295EEELb0ENS0_6detail15normal_iteratorINS0_10device_ptrIKiEEEESD_PiSE_lNS9_INSA_IiEEEESE_NS0_4lessIiEENS2_21serial_set_differenceENS5_6detail19lookback_scan_stateIlLb0ELb1EEEEEvT1_T2_T3_T4_T6_T7_T8_T9_PNS0_4pairIT5_SW_EEPSW_T10_NSK_16ordered_block_idIjEE.num_vgpr, 59
	.set _ZN6thrust23THRUST_200600_302600_NS11hip_rocprim16__set_operations22lookback_set_op_kernelIN7rocprim17ROCPRIM_400000_NS13kernel_configILj256ELj16ELj4294967295EEELb0ENS0_6detail15normal_iteratorINS0_10device_ptrIKiEEEESD_PiSE_lNS9_INSA_IiEEEESE_NS0_4lessIiEENS2_21serial_set_differenceENS5_6detail19lookback_scan_stateIlLb0ELb1EEEEEvT1_T2_T3_T4_T6_T7_T8_T9_PNS0_4pairIT5_SW_EEPSW_T10_NSK_16ordered_block_idIjEE.num_agpr, 0
	.set _ZN6thrust23THRUST_200600_302600_NS11hip_rocprim16__set_operations22lookback_set_op_kernelIN7rocprim17ROCPRIM_400000_NS13kernel_configILj256ELj16ELj4294967295EEELb0ENS0_6detail15normal_iteratorINS0_10device_ptrIKiEEEESD_PiSE_lNS9_INSA_IiEEEESE_NS0_4lessIiEENS2_21serial_set_differenceENS5_6detail19lookback_scan_stateIlLb0ELb1EEEEEvT1_T2_T3_T4_T6_T7_T8_T9_PNS0_4pairIT5_SW_EEPSW_T10_NSK_16ordered_block_idIjEE.numbered_sgpr, 39
	.set _ZN6thrust23THRUST_200600_302600_NS11hip_rocprim16__set_operations22lookback_set_op_kernelIN7rocprim17ROCPRIM_400000_NS13kernel_configILj256ELj16ELj4294967295EEELb0ENS0_6detail15normal_iteratorINS0_10device_ptrIKiEEEESD_PiSE_lNS9_INSA_IiEEEESE_NS0_4lessIiEENS2_21serial_set_differenceENS5_6detail19lookback_scan_stateIlLb0ELb1EEEEEvT1_T2_T3_T4_T6_T7_T8_T9_PNS0_4pairIT5_SW_EEPSW_T10_NSK_16ordered_block_idIjEE.num_named_barrier, 0
	.set _ZN6thrust23THRUST_200600_302600_NS11hip_rocprim16__set_operations22lookback_set_op_kernelIN7rocprim17ROCPRIM_400000_NS13kernel_configILj256ELj16ELj4294967295EEELb0ENS0_6detail15normal_iteratorINS0_10device_ptrIKiEEEESD_PiSE_lNS9_INSA_IiEEEESE_NS0_4lessIiEENS2_21serial_set_differenceENS5_6detail19lookback_scan_stateIlLb0ELb1EEEEEvT1_T2_T3_T4_T6_T7_T8_T9_PNS0_4pairIT5_SW_EEPSW_T10_NSK_16ordered_block_idIjEE.private_seg_size, 0
	.set _ZN6thrust23THRUST_200600_302600_NS11hip_rocprim16__set_operations22lookback_set_op_kernelIN7rocprim17ROCPRIM_400000_NS13kernel_configILj256ELj16ELj4294967295EEELb0ENS0_6detail15normal_iteratorINS0_10device_ptrIKiEEEESD_PiSE_lNS9_INSA_IiEEEESE_NS0_4lessIiEENS2_21serial_set_differenceENS5_6detail19lookback_scan_stateIlLb0ELb1EEEEEvT1_T2_T3_T4_T6_T7_T8_T9_PNS0_4pairIT5_SW_EEPSW_T10_NSK_16ordered_block_idIjEE.uses_vcc, 1
	.set _ZN6thrust23THRUST_200600_302600_NS11hip_rocprim16__set_operations22lookback_set_op_kernelIN7rocprim17ROCPRIM_400000_NS13kernel_configILj256ELj16ELj4294967295EEELb0ENS0_6detail15normal_iteratorINS0_10device_ptrIKiEEEESD_PiSE_lNS9_INSA_IiEEEESE_NS0_4lessIiEENS2_21serial_set_differenceENS5_6detail19lookback_scan_stateIlLb0ELb1EEEEEvT1_T2_T3_T4_T6_T7_T8_T9_PNS0_4pairIT5_SW_EEPSW_T10_NSK_16ordered_block_idIjEE.uses_flat_scratch, 0
	.set _ZN6thrust23THRUST_200600_302600_NS11hip_rocprim16__set_operations22lookback_set_op_kernelIN7rocprim17ROCPRIM_400000_NS13kernel_configILj256ELj16ELj4294967295EEELb0ENS0_6detail15normal_iteratorINS0_10device_ptrIKiEEEESD_PiSE_lNS9_INSA_IiEEEESE_NS0_4lessIiEENS2_21serial_set_differenceENS5_6detail19lookback_scan_stateIlLb0ELb1EEEEEvT1_T2_T3_T4_T6_T7_T8_T9_PNS0_4pairIT5_SW_EEPSW_T10_NSK_16ordered_block_idIjEE.has_dyn_sized_stack, 0
	.set _ZN6thrust23THRUST_200600_302600_NS11hip_rocprim16__set_operations22lookback_set_op_kernelIN7rocprim17ROCPRIM_400000_NS13kernel_configILj256ELj16ELj4294967295EEELb0ENS0_6detail15normal_iteratorINS0_10device_ptrIKiEEEESD_PiSE_lNS9_INSA_IiEEEESE_NS0_4lessIiEENS2_21serial_set_differenceENS5_6detail19lookback_scan_stateIlLb0ELb1EEEEEvT1_T2_T3_T4_T6_T7_T8_T9_PNS0_4pairIT5_SW_EEPSW_T10_NSK_16ordered_block_idIjEE.has_recursion, 0
	.set _ZN6thrust23THRUST_200600_302600_NS11hip_rocprim16__set_operations22lookback_set_op_kernelIN7rocprim17ROCPRIM_400000_NS13kernel_configILj256ELj16ELj4294967295EEELb0ENS0_6detail15normal_iteratorINS0_10device_ptrIKiEEEESD_PiSE_lNS9_INSA_IiEEEESE_NS0_4lessIiEENS2_21serial_set_differenceENS5_6detail19lookback_scan_stateIlLb0ELb1EEEEEvT1_T2_T3_T4_T6_T7_T8_T9_PNS0_4pairIT5_SW_EEPSW_T10_NSK_16ordered_block_idIjEE.has_indirect_call, 0
	.section	.AMDGPU.csdata,"",@progbits
; Kernel info:
; codeLenInByte = 20640
; TotalNumSgprs: 41
; NumVgprs: 59
; ScratchSize: 0
; MemoryBound: 0
; FloatMode: 240
; IeeeMode: 1
; LDSByteSize: 36868 bytes/workgroup (compile time only)
; SGPRBlocks: 0
; VGPRBlocks: 18
; NumSGPRsForWavesPerEU: 41
; NumVGPRsForWavesPerEU: 145
; Occupancy: 6
; WaveLimiterHint : 1
; COMPUTE_PGM_RSRC2:SCRATCH_EN: 0
; COMPUTE_PGM_RSRC2:USER_SGPR: 6
; COMPUTE_PGM_RSRC2:TRAP_HANDLER: 0
; COMPUTE_PGM_RSRC2:TGID_X_EN: 1
; COMPUTE_PGM_RSRC2:TGID_Y_EN: 0
; COMPUTE_PGM_RSRC2:TGID_Z_EN: 0
; COMPUTE_PGM_RSRC2:TIDIG_COMP_CNT: 2
	.section	.text._ZN6thrust23THRUST_200600_302600_NS11hip_rocprim14__parallel_for6kernelILj256EZNS1_16__set_operations9doit_stepILb0ENS0_6detail15normal_iteratorINS0_10device_ptrIKiEEEESB_PiSC_lNS7_INS8_IiEEEESC_NS0_4lessIiEENS4_31serial_set_symmetric_differenceEEE10hipError_tPvRmT0_T1_T2_T3_T4_SP_T5_T6_PSP_T7_T8_P12ihipStream_tbEUllE_jLj1EEEvSL_SM_SM_,"axG",@progbits,_ZN6thrust23THRUST_200600_302600_NS11hip_rocprim14__parallel_for6kernelILj256EZNS1_16__set_operations9doit_stepILb0ENS0_6detail15normal_iteratorINS0_10device_ptrIKiEEEESB_PiSC_lNS7_INS8_IiEEEESC_NS0_4lessIiEENS4_31serial_set_symmetric_differenceEEE10hipError_tPvRmT0_T1_T2_T3_T4_SP_T5_T6_PSP_T7_T8_P12ihipStream_tbEUllE_jLj1EEEvSL_SM_SM_,comdat
	.protected	_ZN6thrust23THRUST_200600_302600_NS11hip_rocprim14__parallel_for6kernelILj256EZNS1_16__set_operations9doit_stepILb0ENS0_6detail15normal_iteratorINS0_10device_ptrIKiEEEESB_PiSC_lNS7_INS8_IiEEEESC_NS0_4lessIiEENS4_31serial_set_symmetric_differenceEEE10hipError_tPvRmT0_T1_T2_T3_T4_SP_T5_T6_PSP_T7_T8_P12ihipStream_tbEUllE_jLj1EEEvSL_SM_SM_ ; -- Begin function _ZN6thrust23THRUST_200600_302600_NS11hip_rocprim14__parallel_for6kernelILj256EZNS1_16__set_operations9doit_stepILb0ENS0_6detail15normal_iteratorINS0_10device_ptrIKiEEEESB_PiSC_lNS7_INS8_IiEEEESC_NS0_4lessIiEENS4_31serial_set_symmetric_differenceEEE10hipError_tPvRmT0_T1_T2_T3_T4_SP_T5_T6_PSP_T7_T8_P12ihipStream_tbEUllE_jLj1EEEvSL_SM_SM_
	.globl	_ZN6thrust23THRUST_200600_302600_NS11hip_rocprim14__parallel_for6kernelILj256EZNS1_16__set_operations9doit_stepILb0ENS0_6detail15normal_iteratorINS0_10device_ptrIKiEEEESB_PiSC_lNS7_INS8_IiEEEESC_NS0_4lessIiEENS4_31serial_set_symmetric_differenceEEE10hipError_tPvRmT0_T1_T2_T3_T4_SP_T5_T6_PSP_T7_T8_P12ihipStream_tbEUllE_jLj1EEEvSL_SM_SM_
	.p2align	8
	.type	_ZN6thrust23THRUST_200600_302600_NS11hip_rocprim14__parallel_for6kernelILj256EZNS1_16__set_operations9doit_stepILb0ENS0_6detail15normal_iteratorINS0_10device_ptrIKiEEEESB_PiSC_lNS7_INS8_IiEEEESC_NS0_4lessIiEENS4_31serial_set_symmetric_differenceEEE10hipError_tPvRmT0_T1_T2_T3_T4_SP_T5_T6_PSP_T7_T8_P12ihipStream_tbEUllE_jLj1EEEvSL_SM_SM_,@function
_ZN6thrust23THRUST_200600_302600_NS11hip_rocprim14__parallel_for6kernelILj256EZNS1_16__set_operations9doit_stepILb0ENS0_6detail15normal_iteratorINS0_10device_ptrIKiEEEESB_PiSC_lNS7_INS8_IiEEEESC_NS0_4lessIiEENS4_31serial_set_symmetric_differenceEEE10hipError_tPvRmT0_T1_T2_T3_T4_SP_T5_T6_PSP_T7_T8_P12ihipStream_tbEUllE_jLj1EEEvSL_SM_SM_: ; @_ZN6thrust23THRUST_200600_302600_NS11hip_rocprim14__parallel_for6kernelILj256EZNS1_16__set_operations9doit_stepILb0ENS0_6detail15normal_iteratorINS0_10device_ptrIKiEEEESB_PiSC_lNS7_INS8_IiEEEESC_NS0_4lessIiEENS4_31serial_set_symmetric_differenceEEE10hipError_tPvRmT0_T1_T2_T3_T4_SP_T5_T6_PSP_T7_T8_P12ihipStream_tbEUllE_jLj1EEEvSL_SM_SM_
; %bb.0:
	s_clause 0x2
	s_load_dwordx2 s[0:1], s[4:5], 0x30
	s_load_dwordx2 s[2:3], s[4:5], 0x20
	s_load_dwordx8 s[8:15], s[4:5], 0x0
	s_lshl_b32 s4, s6, 8
	s_waitcnt lgkmcnt(0)
	s_add_i32 s1, s1, s4
	s_sub_i32 s4, s0, s1
	s_mov_b32 s0, -1
	s_cmpk_gt_u32 s4, 0xff
	s_cbranch_scc0 .LBB26_3
; %bb.1:
	s_andn2_b32 vcc_lo, exec_lo, s0
	s_cbranch_vccz .LBB26_40
.LBB26_2:
	s_endpgm
.LBB26_3:
	v_cmp_gt_u32_e32 vcc_lo, s4, v0
	s_and_saveexec_b32 s4, vcc_lo
	s_cbranch_execz .LBB26_39
; %bb.4:
	v_add_nc_u32_e32 v3, s1, v0
	s_add_u32 s6, s10, s8
	s_addc_u32 s7, s11, s9
	v_mov_b32_e32 v4, 0
	s_mov_b32 s5, 0
	v_mad_u64_u32 v[1:2], null, 0xfff, v3, 0
	v_cmp_lt_i64_e32 vcc_lo, s[6:7], v[1:2]
	v_cndmask_b32_e64 v5, v1, s6, vcc_lo
	v_cndmask_b32_e64 v6, v2, s7, vcc_lo
	v_sub_co_u32 v1, vcc_lo, v5, s10
	v_subrev_co_ci_u32_e64 v2, null, s11, v6, vcc_lo
	v_cmp_lt_i64_e64 s0, s[8:9], v[5:6]
	v_cmp_lt_i64_e32 vcc_lo, 0, v[1:2]
	v_cndmask_b32_e64 v8, v6, s9, s0
	v_cndmask_b32_e64 v7, v5, s8, s0
	s_mov_b32 s0, exec_lo
	v_cndmask_b32_e32 v2, 0, v2, vcc_lo
	v_cndmask_b32_e32 v1, 0, v1, vcc_lo
	v_cmpx_lt_i64_e64 v[1:2], v[7:8]
	s_cbranch_execz .LBB26_8
; %bb.5:
	v_lshlrev_b64 v[9:10], 2, v[5:6]
	v_add_co_u32 v9, vcc_lo, s2, v9
	v_add_co_ci_u32_e64 v10, null, s3, v10, vcc_lo
	s_inst_prefetch 0x1
	.p2align	6
.LBB26_6:                               ; =>This Inner Loop Header: Depth=1
	v_add_co_u32 v11, vcc_lo, v7, v1
	v_add_co_ci_u32_e64 v12, null, v8, v2, vcc_lo
	v_lshrrev_b64 v[11:12], 1, v[11:12]
	v_lshlrev_b64 v[13:14], 2, v[11:12]
	v_xor_b32_e32 v15, -4, v13
	v_xor_b32_e32 v16, -1, v14
	v_add_co_u32 v13, vcc_lo, s14, v13
	v_add_co_ci_u32_e64 v14, null, s15, v14, vcc_lo
	v_add_co_u32 v15, vcc_lo, v9, v15
	v_add_co_ci_u32_e64 v16, null, v10, v16, vcc_lo
	global_load_dword v13, v[13:14], off
	global_load_dword v14, v[15:16], off
	v_add_co_u32 v15, vcc_lo, v11, 1
	v_add_co_ci_u32_e64 v16, null, 0, v12, vcc_lo
	s_waitcnt vmcnt(0)
	v_cmp_lt_i32_e32 vcc_lo, v14, v13
	v_cndmask_b32_e32 v8, v8, v12, vcc_lo
	v_cndmask_b32_e32 v7, v7, v11, vcc_lo
	;; [unrolled: 1-line block ×4, first 2 shown]
	v_cmp_ge_i64_e32 vcc_lo, v[1:2], v[7:8]
	s_or_b32 s5, vcc_lo, s5
	s_andn2_b32 exec_lo, exec_lo, s5
	s_cbranch_execnz .LBB26_6
; %bb.7:
	s_inst_prefetch 0x2
	s_or_b32 exec_lo, exec_lo, s5
.LBB26_8:
	s_or_b32 exec_lo, exec_lo, s0
	v_sub_co_u32 v11, vcc_lo, v5, v1
	v_mov_b32_e32 v9, 0
	v_sub_co_ci_u32_e64 v12, null, v6, v2, vcc_lo
	v_mov_b32_e32 v10, 0
	s_mov_b32 s5, exec_lo
	v_cmpx_gt_i64_e64 s[10:11], v[11:12]
	s_cbranch_execz .LBB26_38
; %bb.9:
	v_lshlrev_b64 v[7:8], 2, v[11:12]
	v_mov_b32_e32 v13, 0
	v_mov_b32_e32 v14, 0
	s_mov_b32 s0, exec_lo
	v_add_co_u32 v9, vcc_lo, s2, v7
	v_add_co_ci_u32_e64 v10, null, s3, v8, vcc_lo
	v_mov_b32_e32 v7, 0
	v_mov_b32_e32 v8, 0
	global_load_dword v19, v[9:10], off
	v_cmpx_lt_i64_e32 0, v[1:2]
	s_cbranch_execnz .LBB26_14
; %bb.10:
	s_or_b32 exec_lo, exec_lo, s0
	s_mov_b32 s0, exec_lo
	v_cmpx_lt_u64_e64 v[7:8], v[13:14]
	s_cbranch_execnz .LBB26_15
.LBB26_11:
	s_or_b32 exec_lo, exec_lo, s0
	s_mov_b32 s0, exec_lo
	v_cmpx_lt_u64_e64 v[7:8], v[13:14]
	s_cbranch_execnz .LBB26_16
.LBB26_12:
	s_or_b32 exec_lo, exec_lo, s0
	s_mov_b32 s0, exec_lo
	v_cmpx_lt_u64_e64 v[7:8], v[13:14]
	s_cbranch_execnz .LBB26_17
.LBB26_13:
	s_or_b32 exec_lo, exec_lo, s0
	s_mov_b32 s0, exec_lo
	v_cmpx_lt_u64_e64 v[7:8], v[13:14]
	s_cbranch_execnz .LBB26_18
	s_branch .LBB26_21
.LBB26_14:
	v_mad_u64_u32 v[7:8], null, 0x1ff, v1, 0
	v_mad_u64_u32 v[13:14], null, 0x1ff, v2, v[8:9]
	v_mov_b32_e32 v8, v13
	v_lshrrev_b64 v[13:14], 9, v[7:8]
	v_lshlrev_b64 v[7:8], 2, v[13:14]
	v_add_co_u32 v7, vcc_lo, s14, v7
	v_add_co_ci_u32_e64 v8, null, s15, v8, vcc_lo
	v_add_co_u32 v15, vcc_lo, v13, 1
	global_load_dword v7, v[7:8], off
	v_add_co_ci_u32_e64 v8, null, 0, v14, vcc_lo
	s_waitcnt vmcnt(0)
	v_cmp_lt_i32_e32 vcc_lo, v7, v19
	v_cndmask_b32_e32 v8, 0, v8, vcc_lo
	v_cndmask_b32_e32 v7, 0, v15, vcc_lo
	;; [unrolled: 1-line block ×4, first 2 shown]
	s_or_b32 exec_lo, exec_lo, s0
	s_mov_b32 s0, exec_lo
	v_cmpx_lt_u64_e64 v[7:8], v[13:14]
	s_cbranch_execz .LBB26_11
.LBB26_15:
	v_mad_u64_u32 v[15:16], null, 0x7f, v13, v[7:8]
	v_mad_u64_u32 v[16:17], null, 0x7f, v14, v[16:17]
	v_lshrrev_b64 v[15:16], 7, v[15:16]
	v_lshlrev_b64 v[17:18], 2, v[15:16]
	v_add_co_u32 v17, vcc_lo, s14, v17
	v_add_co_ci_u32_e64 v18, null, s15, v18, vcc_lo
	global_load_dword v17, v[17:18], off
	v_add_co_u32 v18, vcc_lo, v15, 1
	v_add_co_ci_u32_e64 v20, null, 0, v16, vcc_lo
	s_waitcnt vmcnt(0)
	v_cmp_lt_i32_e32 vcc_lo, v17, v19
	v_cndmask_b32_e32 v8, v8, v20, vcc_lo
	v_cndmask_b32_e32 v7, v7, v18, vcc_lo
	;; [unrolled: 1-line block ×4, first 2 shown]
	s_or_b32 exec_lo, exec_lo, s0
	s_mov_b32 s0, exec_lo
	v_cmpx_lt_u64_e64 v[7:8], v[13:14]
	s_cbranch_execz .LBB26_12
.LBB26_16:
	v_mad_u64_u32 v[15:16], null, v13, 31, v[7:8]
	v_mad_u64_u32 v[16:17], null, v14, 31, v[16:17]
	v_lshrrev_b64 v[15:16], 5, v[15:16]
	v_lshlrev_b64 v[17:18], 2, v[15:16]
	v_add_co_u32 v17, vcc_lo, s14, v17
	v_add_co_ci_u32_e64 v18, null, s15, v18, vcc_lo
	global_load_dword v17, v[17:18], off
	v_add_co_u32 v18, vcc_lo, v15, 1
	v_add_co_ci_u32_e64 v20, null, 0, v16, vcc_lo
	s_waitcnt vmcnt(0)
	v_cmp_lt_i32_e32 vcc_lo, v17, v19
	v_cndmask_b32_e32 v8, v8, v20, vcc_lo
	v_cndmask_b32_e32 v7, v7, v18, vcc_lo
	;; [unrolled: 1-line block ×4, first 2 shown]
	s_or_b32 exec_lo, exec_lo, s0
	s_mov_b32 s0, exec_lo
	v_cmpx_lt_u64_e64 v[7:8], v[13:14]
	s_cbranch_execz .LBB26_13
.LBB26_17:
	v_mad_u64_u32 v[15:16], null, v13, 15, v[7:8]
	v_mad_u64_u32 v[16:17], null, v14, 15, v[16:17]
	v_lshrrev_b64 v[15:16], 4, v[15:16]
	v_lshlrev_b64 v[17:18], 2, v[15:16]
	v_add_co_u32 v17, vcc_lo, s14, v17
	v_add_co_ci_u32_e64 v18, null, s15, v18, vcc_lo
	global_load_dword v17, v[17:18], off
	v_add_co_u32 v18, vcc_lo, v15, 1
	v_add_co_ci_u32_e64 v20, null, 0, v16, vcc_lo
	s_waitcnt vmcnt(0)
	v_cmp_lt_i32_e32 vcc_lo, v17, v19
	v_cndmask_b32_e32 v8, v8, v20, vcc_lo
	v_cndmask_b32_e32 v7, v7, v18, vcc_lo
	;; [unrolled: 1-line block ×4, first 2 shown]
	s_or_b32 exec_lo, exec_lo, s0
	s_mov_b32 s0, exec_lo
	v_cmpx_lt_u64_e64 v[7:8], v[13:14]
	s_cbranch_execz .LBB26_21
.LBB26_18:
	s_mov_b32 s6, 0
	.p2align	6
.LBB26_19:                              ; =>This Inner Loop Header: Depth=1
	v_add_co_u32 v15, vcc_lo, v7, v13
	v_add_co_ci_u32_e64 v16, null, v8, v14, vcc_lo
	v_lshrrev_b64 v[15:16], 1, v[15:16]
	v_lshlrev_b64 v[17:18], 2, v[15:16]
	v_add_co_u32 v17, vcc_lo, s14, v17
	v_add_co_ci_u32_e64 v18, null, s15, v18, vcc_lo
	global_load_dword v17, v[17:18], off
	v_add_co_u32 v18, vcc_lo, v15, 1
	v_add_co_ci_u32_e64 v20, null, 0, v16, vcc_lo
	s_waitcnt vmcnt(0)
	v_cmp_lt_i32_e32 vcc_lo, v17, v19
	v_cndmask_b32_e32 v8, v8, v20, vcc_lo
	v_cndmask_b32_e32 v7, v7, v18, vcc_lo
	;; [unrolled: 1-line block ×4, first 2 shown]
	v_cmp_ge_i64_e32 vcc_lo, v[7:8], v[13:14]
	s_or_b32 s6, vcc_lo, s6
	s_andn2_b32 exec_lo, exec_lo, s6
	s_cbranch_execnz .LBB26_19
; %bb.20:
	s_or_b32 exec_lo, exec_lo, s6
.LBB26_21:
	s_or_b32 exec_lo, exec_lo, s0
	v_mov_b32_e32 v13, 0
	v_mov_b32_e32 v16, v12
	;; [unrolled: 1-line block ×4, first 2 shown]
	s_mov_b32 s0, exec_lo
	v_cmpx_lt_i64_e32 0, v[11:12]
	s_cbranch_execnz .LBB26_26
; %bb.22:
	s_or_b32 exec_lo, exec_lo, s0
	s_mov_b32 s0, exec_lo
	v_cmpx_lt_i64_e64 v[13:14], v[15:16]
	s_cbranch_execnz .LBB26_27
.LBB26_23:
	s_or_b32 exec_lo, exec_lo, s0
	s_mov_b32 s0, exec_lo
	v_cmpx_lt_i64_e64 v[13:14], v[15:16]
	s_cbranch_execnz .LBB26_28
.LBB26_24:
	s_or_b32 exec_lo, exec_lo, s0
	s_mov_b32 s0, exec_lo
	v_cmpx_lt_i64_e64 v[13:14], v[15:16]
	s_cbranch_execnz .LBB26_29
.LBB26_25:
	s_or_b32 exec_lo, exec_lo, s0
	s_mov_b32 s0, exec_lo
	v_cmpx_lt_i64_e64 v[13:14], v[15:16]
	s_cbranch_execnz .LBB26_30
	s_branch .LBB26_33
.LBB26_26:
	v_mad_u64_u32 v[13:14], null, 0x1ff, v11, 0
	v_mad_u64_u32 v[14:15], null, 0x1ff, v12, v[14:15]
	v_lshrrev_b64 v[15:16], 9, v[13:14]
	v_lshlrev_b64 v[13:14], 2, v[15:16]
	v_add_co_u32 v13, vcc_lo, s2, v13
	v_add_co_ci_u32_e64 v14, null, s3, v14, vcc_lo
	v_add_co_u32 v17, vcc_lo, v15, 1
	global_load_dword v13, v[13:14], off
	v_add_co_ci_u32_e64 v14, null, 0, v16, vcc_lo
	s_waitcnt vmcnt(0)
	v_cmp_lt_i32_e32 vcc_lo, v13, v19
	v_cndmask_b32_e32 v14, 0, v14, vcc_lo
	v_cndmask_b32_e32 v13, 0, v17, vcc_lo
	;; [unrolled: 1-line block ×4, first 2 shown]
	s_or_b32 exec_lo, exec_lo, s0
	s_mov_b32 s0, exec_lo
	v_cmpx_lt_i64_e64 v[13:14], v[15:16]
	s_cbranch_execz .LBB26_23
.LBB26_27:
	v_mad_u64_u32 v[17:18], null, 0x7f, v15, v[13:14]
	s_waitcnt vmcnt(0)
	v_mad_u64_u32 v[20:21], null, 0x7f, v16, v[18:19]
	v_mov_b32_e32 v18, v20
	v_lshrrev_b64 v[17:18], 7, v[17:18]
	v_lshlrev_b64 v[20:21], 2, v[17:18]
	v_add_co_u32 v20, vcc_lo, s2, v20
	v_add_co_ci_u32_e64 v21, null, s3, v21, vcc_lo
	global_load_dword v20, v[20:21], off
	v_add_co_u32 v21, vcc_lo, v17, 1
	v_add_co_ci_u32_e64 v22, null, 0, v18, vcc_lo
	s_waitcnt vmcnt(0)
	v_cmp_lt_i32_e32 vcc_lo, v20, v19
	v_cndmask_b32_e32 v14, v14, v22, vcc_lo
	v_cndmask_b32_e32 v13, v13, v21, vcc_lo
	v_cndmask_b32_e32 v16, v18, v16, vcc_lo
	v_cndmask_b32_e32 v15, v17, v15, vcc_lo
	s_or_b32 exec_lo, exec_lo, s0
	s_mov_b32 s0, exec_lo
	v_cmpx_lt_i64_e64 v[13:14], v[15:16]
	s_cbranch_execz .LBB26_24
.LBB26_28:
	v_mad_u64_u32 v[17:18], null, v15, 31, v[13:14]
	s_waitcnt vmcnt(0)
	v_mad_u64_u32 v[20:21], null, v16, 31, v[18:19]
	v_mov_b32_e32 v18, v20
	v_lshrrev_b64 v[17:18], 5, v[17:18]
	v_lshlrev_b64 v[20:21], 2, v[17:18]
	v_add_co_u32 v20, vcc_lo, s2, v20
	v_add_co_ci_u32_e64 v21, null, s3, v21, vcc_lo
	global_load_dword v20, v[20:21], off
	v_add_co_u32 v21, vcc_lo, v17, 1
	v_add_co_ci_u32_e64 v22, null, 0, v18, vcc_lo
	s_waitcnt vmcnt(0)
	v_cmp_lt_i32_e32 vcc_lo, v20, v19
	v_cndmask_b32_e32 v14, v14, v22, vcc_lo
	v_cndmask_b32_e32 v13, v13, v21, vcc_lo
	;; [unrolled: 1-line block ×4, first 2 shown]
	s_or_b32 exec_lo, exec_lo, s0
	s_mov_b32 s0, exec_lo
	v_cmpx_lt_i64_e64 v[13:14], v[15:16]
	s_cbranch_execz .LBB26_25
.LBB26_29:
	v_mad_u64_u32 v[17:18], null, v15, 15, v[13:14]
	s_waitcnt vmcnt(0)
	v_mad_u64_u32 v[20:21], null, v16, 15, v[18:19]
	v_mov_b32_e32 v18, v20
	v_lshrrev_b64 v[17:18], 4, v[17:18]
	v_lshlrev_b64 v[20:21], 2, v[17:18]
	v_add_co_u32 v20, vcc_lo, s2, v20
	v_add_co_ci_u32_e64 v21, null, s3, v21, vcc_lo
	global_load_dword v20, v[20:21], off
	v_add_co_u32 v21, vcc_lo, v17, 1
	v_add_co_ci_u32_e64 v22, null, 0, v18, vcc_lo
	s_waitcnt vmcnt(0)
	v_cmp_lt_i32_e32 vcc_lo, v20, v19
	v_cndmask_b32_e32 v14, v14, v22, vcc_lo
	v_cndmask_b32_e32 v13, v13, v21, vcc_lo
	;; [unrolled: 1-line block ×4, first 2 shown]
	s_or_b32 exec_lo, exec_lo, s0
	s_mov_b32 s0, exec_lo
	v_cmpx_lt_i64_e64 v[13:14], v[15:16]
	s_cbranch_execz .LBB26_33
.LBB26_30:
	s_mov_b32 s6, 0
	.p2align	6
.LBB26_31:                              ; =>This Inner Loop Header: Depth=1
	v_add_co_u32 v17, vcc_lo, v13, v15
	v_add_co_ci_u32_e64 v18, null, v14, v16, vcc_lo
	v_lshrrev_b64 v[17:18], 1, v[17:18]
	v_lshlrev_b64 v[20:21], 2, v[17:18]
	v_add_co_u32 v20, vcc_lo, s2, v20
	v_add_co_ci_u32_e64 v21, null, s3, v21, vcc_lo
	global_load_dword v20, v[20:21], off
	v_add_co_u32 v21, vcc_lo, v17, 1
	v_add_co_ci_u32_e64 v22, null, 0, v18, vcc_lo
	s_waitcnt vmcnt(0)
	v_cmp_lt_i32_e32 vcc_lo, v20, v19
	v_cndmask_b32_e32 v14, v14, v22, vcc_lo
	v_cndmask_b32_e32 v13, v13, v21, vcc_lo
	;; [unrolled: 1-line block ×4, first 2 shown]
	v_cmp_ge_i64_e32 vcc_lo, v[13:14], v[15:16]
	s_or_b32 s6, vcc_lo, s6
	s_andn2_b32 exec_lo, exec_lo, s6
	s_cbranch_execnz .LBB26_31
; %bb.32:
	s_or_b32 exec_lo, exec_lo, s6
.LBB26_33:
	s_or_b32 exec_lo, exec_lo, s0
	v_sub_co_u32 v1, vcc_lo, v1, v7
	v_sub_co_ci_u32_e64 v2, null, v2, v8, vcc_lo
	v_sub_co_u32 v17, vcc_lo, v11, v13
	v_sub_co_ci_u32_e64 v18, null, v12, v14, vcc_lo
	s_mov_b32 s0, exec_lo
	v_add_co_u32 v15, vcc_lo, v17, v1
	v_add_co_ci_u32_e64 v16, null, v18, v2, vcc_lo
	v_ashrrev_i64 v[1:2], 1, v[15:16]
	v_cmp_gt_i64_e32 vcc_lo, v[1:2], v[17:18]
	v_cndmask_b32_e32 v1, v17, v1, vcc_lo
	v_cndmask_b32_e32 v2, v18, v2, vcc_lo
	v_add_co_u32 v13, vcc_lo, v13, v1
	v_add_co_ci_u32_e64 v14, null, v14, v2, vcc_lo
	v_add_co_u32 v13, vcc_lo, v13, 1
	v_add_co_ci_u32_e64 v14, null, 0, v14, vcc_lo
	v_cmp_gt_i64_e32 vcc_lo, s[10:11], v[13:14]
	v_cndmask_b32_e32 v13, s10, v13, vcc_lo
	v_cndmask_b32_e32 v14, s11, v14, vcc_lo
	v_sub_co_u32 v13, vcc_lo, v13, v11
	v_sub_co_ci_u32_e64 v14, null, v14, v12, vcc_lo
	v_mov_b32_e32 v11, 0
	v_mov_b32_e32 v12, 0
	v_cmpx_lt_i64_e32 0, v[13:14]
	s_cbranch_execz .LBB26_37
; %bb.34:
	v_mov_b32_e32 v11, 0
	v_mov_b32_e32 v12, 0
	s_mov_b32 s6, 0
	.p2align	6
.LBB26_35:                              ; =>This Inner Loop Header: Depth=1
	v_add_co_u32 v20, vcc_lo, v11, v13
	v_add_co_ci_u32_e64 v21, null, v12, v14, vcc_lo
	v_lshrrev_b64 v[20:21], 1, v[20:21]
	v_lshlrev_b64 v[22:23], 2, v[20:21]
	v_add_co_u32 v22, vcc_lo, v9, v22
	v_add_co_ci_u32_e64 v23, null, v10, v23, vcc_lo
	global_load_dword v22, v[22:23], off
	v_add_co_u32 v23, vcc_lo, v20, 1
	v_add_co_ci_u32_e64 v24, null, 0, v21, vcc_lo
	s_waitcnt vmcnt(0)
	v_cmp_lt_i32_e32 vcc_lo, v19, v22
	v_cndmask_b32_e32 v12, v24, v12, vcc_lo
	v_cndmask_b32_e32 v11, v23, v11, vcc_lo
	;; [unrolled: 1-line block ×4, first 2 shown]
	v_cmp_ge_i64_e32 vcc_lo, v[11:12], v[13:14]
	s_or_b32 s6, vcc_lo, s6
	s_andn2_b32 exec_lo, exec_lo, s6
	s_cbranch_execnz .LBB26_35
; %bb.36:
	s_or_b32 exec_lo, exec_lo, s6
	v_ashrrev_i32_e32 v12, 31, v11
.LBB26_37:
	s_or_b32 exec_lo, exec_lo, s0
	v_add_co_u32 v9, vcc_lo, v11, v17
	v_add_co_ci_u32_e64 v10, null, v12, v18, vcc_lo
	s_mov_b32 s6, 0
	v_cmp_lt_i64_e32 vcc_lo, v[9:10], v[1:2]
	v_cndmask_b32_e32 v13, v1, v9, vcc_lo
	v_cndmask_b32_e32 v14, v2, v10, vcc_lo
	v_sub_co_u32 v11, vcc_lo, v15, v13
	v_sub_co_ci_u32_e64 v12, null, v16, v14, vcc_lo
	v_add_co_u32 v13, vcc_lo, v13, 1
	v_add_co_ci_u32_e64 v14, null, 0, v14, vcc_lo
	v_cmp_lt_i64_e32 vcc_lo, v[1:2], v[9:10]
	v_mov_b32_e32 v10, s6
	v_cmp_eq_u64_e64 s0, v[11:12], v[13:14]
	s_and_b32 s0, s0, vcc_lo
	v_add_co_u32 v1, vcc_lo, v11, v7
	v_cndmask_b32_e64 v9, 0, 1, s0
	v_add_co_ci_u32_e64 v2, null, v12, v8, vcc_lo
.LBB26_38:
	s_or_b32 exec_lo, exec_lo, s5
	v_lshlrev_b64 v[3:4], 4, v[3:4]
	v_add_co_u32 v7, vcc_lo, v9, v5
	v_add_co_ci_u32_e64 v8, null, v10, v6, vcc_lo
	v_add_co_u32 v5, vcc_lo, s12, v3
	v_add_co_ci_u32_e64 v6, null, s13, v4, vcc_lo
	v_sub_co_u32 v3, vcc_lo, v7, v1
	v_sub_co_ci_u32_e64 v4, null, v8, v2, vcc_lo
	global_store_dwordx4 v[5:6], v[1:4], off
.LBB26_39:
	s_or_b32 exec_lo, exec_lo, s4
	s_cbranch_execnz .LBB26_2
.LBB26_40:
	v_add_nc_u32_e32 v2, s1, v0
	s_add_u32 s0, s10, s8
	s_addc_u32 s1, s11, s9
	v_mov_b32_e32 v3, 0
	v_mad_u64_u32 v[0:1], null, 0xfff, v2, 0
	v_cmp_lt_i64_e32 vcc_lo, s[0:1], v[0:1]
	v_cndmask_b32_e64 v4, v0, s0, vcc_lo
	v_cndmask_b32_e64 v5, v1, s1, vcc_lo
	s_mov_b32 s1, 0
	v_sub_co_u32 v0, vcc_lo, v4, s10
	v_subrev_co_ci_u32_e64 v1, null, s11, v5, vcc_lo
	v_cmp_lt_i64_e64 s0, s[8:9], v[4:5]
	v_cmp_lt_i64_e32 vcc_lo, 0, v[0:1]
	v_cndmask_b32_e64 v7, v5, s9, s0
	v_cndmask_b32_e64 v6, v4, s8, s0
	s_mov_b32 s0, exec_lo
	v_cndmask_b32_e32 v1, 0, v1, vcc_lo
	v_cndmask_b32_e32 v0, 0, v0, vcc_lo
	v_cmpx_lt_i64_e64 v[0:1], v[6:7]
	s_cbranch_execz .LBB26_44
; %bb.41:
	v_lshlrev_b64 v[8:9], 2, v[4:5]
	v_add_co_u32 v8, vcc_lo, s2, v8
	v_add_co_ci_u32_e64 v9, null, s3, v9, vcc_lo
	s_inst_prefetch 0x1
	.p2align	6
.LBB26_42:                              ; =>This Inner Loop Header: Depth=1
	v_add_co_u32 v10, vcc_lo, v6, v0
	v_add_co_ci_u32_e64 v11, null, v7, v1, vcc_lo
	v_lshrrev_b64 v[10:11], 1, v[10:11]
	v_lshlrev_b64 v[12:13], 2, v[10:11]
	v_xor_b32_e32 v14, -4, v12
	v_xor_b32_e32 v15, -1, v13
	v_add_co_u32 v12, vcc_lo, s14, v12
	v_add_co_ci_u32_e64 v13, null, s15, v13, vcc_lo
	v_add_co_u32 v14, vcc_lo, v8, v14
	v_add_co_ci_u32_e64 v15, null, v9, v15, vcc_lo
	global_load_dword v12, v[12:13], off
	global_load_dword v13, v[14:15], off
	v_add_co_u32 v14, vcc_lo, v10, 1
	v_add_co_ci_u32_e64 v15, null, 0, v11, vcc_lo
	s_waitcnt vmcnt(0)
	v_cmp_lt_i32_e32 vcc_lo, v13, v12
	v_cndmask_b32_e32 v7, v7, v11, vcc_lo
	v_cndmask_b32_e32 v6, v6, v10, vcc_lo
	;; [unrolled: 1-line block ×4, first 2 shown]
	v_cmp_ge_i64_e32 vcc_lo, v[0:1], v[6:7]
	s_or_b32 s1, vcc_lo, s1
	s_andn2_b32 exec_lo, exec_lo, s1
	s_cbranch_execnz .LBB26_42
; %bb.43:
	s_inst_prefetch 0x2
	s_or_b32 exec_lo, exec_lo, s1
.LBB26_44:
	s_or_b32 exec_lo, exec_lo, s0
	v_sub_co_u32 v10, vcc_lo, v4, v0
	v_mov_b32_e32 v8, 0
	v_sub_co_ci_u32_e64 v11, null, v5, v1, vcc_lo
	v_mov_b32_e32 v9, 0
	s_mov_b32 s1, exec_lo
	v_cmpx_gt_i64_e64 s[10:11], v[10:11]
	s_cbranch_execz .LBB26_74
; %bb.45:
	v_lshlrev_b64 v[6:7], 2, v[10:11]
	v_mov_b32_e32 v12, 0
	v_mov_b32_e32 v13, 0
	s_mov_b32 s0, exec_lo
	v_add_co_u32 v8, vcc_lo, s2, v6
	v_add_co_ci_u32_e64 v9, null, s3, v7, vcc_lo
	v_mov_b32_e32 v6, 0
	v_mov_b32_e32 v7, 0
	global_load_dword v18, v[8:9], off
	v_cmpx_lt_i64_e32 0, v[0:1]
	s_cbranch_execnz .LBB26_50
; %bb.46:
	s_or_b32 exec_lo, exec_lo, s0
	s_mov_b32 s0, exec_lo
	v_cmpx_lt_u64_e64 v[6:7], v[12:13]
	s_cbranch_execnz .LBB26_51
.LBB26_47:
	s_or_b32 exec_lo, exec_lo, s0
	s_mov_b32 s0, exec_lo
	v_cmpx_lt_u64_e64 v[6:7], v[12:13]
	s_cbranch_execnz .LBB26_52
.LBB26_48:
	s_or_b32 exec_lo, exec_lo, s0
	s_mov_b32 s0, exec_lo
	v_cmpx_lt_u64_e64 v[6:7], v[12:13]
	s_cbranch_execnz .LBB26_53
.LBB26_49:
	s_or_b32 exec_lo, exec_lo, s0
	s_mov_b32 s0, exec_lo
	v_cmpx_lt_u64_e64 v[6:7], v[12:13]
	s_cbranch_execnz .LBB26_54
	s_branch .LBB26_57
.LBB26_50:
	v_mad_u64_u32 v[6:7], null, 0x1ff, v0, 0
	v_mad_u64_u32 v[12:13], null, 0x1ff, v1, v[7:8]
	v_mov_b32_e32 v7, v12
	v_lshrrev_b64 v[12:13], 9, v[6:7]
	v_lshlrev_b64 v[6:7], 2, v[12:13]
	v_add_co_u32 v6, vcc_lo, s14, v6
	v_add_co_ci_u32_e64 v7, null, s15, v7, vcc_lo
	v_add_co_u32 v14, vcc_lo, v12, 1
	global_load_dword v6, v[6:7], off
	v_add_co_ci_u32_e64 v7, null, 0, v13, vcc_lo
	s_waitcnt vmcnt(0)
	v_cmp_lt_i32_e32 vcc_lo, v6, v18
	v_cndmask_b32_e32 v7, 0, v7, vcc_lo
	v_cndmask_b32_e32 v6, 0, v14, vcc_lo
	;; [unrolled: 1-line block ×4, first 2 shown]
	s_or_b32 exec_lo, exec_lo, s0
	s_mov_b32 s0, exec_lo
	v_cmpx_lt_u64_e64 v[6:7], v[12:13]
	s_cbranch_execz .LBB26_47
.LBB26_51:
	v_mad_u64_u32 v[14:15], null, 0x7f, v12, v[6:7]
	v_mad_u64_u32 v[15:16], null, 0x7f, v13, v[15:16]
	v_lshrrev_b64 v[14:15], 7, v[14:15]
	v_lshlrev_b64 v[16:17], 2, v[14:15]
	v_add_co_u32 v16, vcc_lo, s14, v16
	v_add_co_ci_u32_e64 v17, null, s15, v17, vcc_lo
	global_load_dword v16, v[16:17], off
	v_add_co_u32 v17, vcc_lo, v14, 1
	s_waitcnt vmcnt(2)
	v_add_co_ci_u32_e64 v19, null, 0, v15, vcc_lo
	s_waitcnt vmcnt(0)
	v_cmp_lt_i32_e32 vcc_lo, v16, v18
	v_cndmask_b32_e32 v7, v7, v19, vcc_lo
	v_cndmask_b32_e32 v6, v6, v17, vcc_lo
	;; [unrolled: 1-line block ×4, first 2 shown]
	s_or_b32 exec_lo, exec_lo, s0
	s_mov_b32 s0, exec_lo
	v_cmpx_lt_u64_e64 v[6:7], v[12:13]
	s_cbranch_execz .LBB26_48
.LBB26_52:
	v_mad_u64_u32 v[14:15], null, v12, 31, v[6:7]
	v_mad_u64_u32 v[15:16], null, v13, 31, v[15:16]
	v_lshrrev_b64 v[14:15], 5, v[14:15]
	v_lshlrev_b64 v[16:17], 2, v[14:15]
	v_add_co_u32 v16, vcc_lo, s14, v16
	v_add_co_ci_u32_e64 v17, null, s15, v17, vcc_lo
	global_load_dword v16, v[16:17], off
	v_add_co_u32 v17, vcc_lo, v14, 1
	s_waitcnt vmcnt(2)
	v_add_co_ci_u32_e64 v19, null, 0, v15, vcc_lo
	s_waitcnt vmcnt(0)
	v_cmp_lt_i32_e32 vcc_lo, v16, v18
	v_cndmask_b32_e32 v7, v7, v19, vcc_lo
	v_cndmask_b32_e32 v6, v6, v17, vcc_lo
	v_cndmask_b32_e32 v13, v15, v13, vcc_lo
	v_cndmask_b32_e32 v12, v14, v12, vcc_lo
	s_or_b32 exec_lo, exec_lo, s0
	s_mov_b32 s0, exec_lo
	v_cmpx_lt_u64_e64 v[6:7], v[12:13]
	s_cbranch_execz .LBB26_49
.LBB26_53:
	v_mad_u64_u32 v[14:15], null, v12, 15, v[6:7]
	v_mad_u64_u32 v[15:16], null, v13, 15, v[15:16]
	v_lshrrev_b64 v[14:15], 4, v[14:15]
	v_lshlrev_b64 v[16:17], 2, v[14:15]
	v_add_co_u32 v16, vcc_lo, s14, v16
	v_add_co_ci_u32_e64 v17, null, s15, v17, vcc_lo
	global_load_dword v16, v[16:17], off
	v_add_co_u32 v17, vcc_lo, v14, 1
	s_waitcnt vmcnt(2)
	v_add_co_ci_u32_e64 v19, null, 0, v15, vcc_lo
	s_waitcnt vmcnt(0)
	v_cmp_lt_i32_e32 vcc_lo, v16, v18
	v_cndmask_b32_e32 v7, v7, v19, vcc_lo
	v_cndmask_b32_e32 v6, v6, v17, vcc_lo
	;; [unrolled: 1-line block ×4, first 2 shown]
	s_or_b32 exec_lo, exec_lo, s0
	s_mov_b32 s0, exec_lo
	v_cmpx_lt_u64_e64 v[6:7], v[12:13]
	s_cbranch_execz .LBB26_57
.LBB26_54:
	s_mov_b32 s4, 0
	.p2align	6
.LBB26_55:                              ; =>This Inner Loop Header: Depth=1
	v_add_co_u32 v14, vcc_lo, v6, v12
	v_add_co_ci_u32_e64 v15, null, v7, v13, vcc_lo
	v_lshrrev_b64 v[14:15], 1, v[14:15]
	v_lshlrev_b64 v[16:17], 2, v[14:15]
	v_add_co_u32 v16, vcc_lo, s14, v16
	v_add_co_ci_u32_e64 v17, null, s15, v17, vcc_lo
	global_load_dword v16, v[16:17], off
	v_add_co_u32 v17, vcc_lo, v14, 1
	s_waitcnt vmcnt(2)
	v_add_co_ci_u32_e64 v19, null, 0, v15, vcc_lo
	s_waitcnt vmcnt(0)
	v_cmp_lt_i32_e32 vcc_lo, v16, v18
	v_cndmask_b32_e32 v7, v7, v19, vcc_lo
	v_cndmask_b32_e32 v6, v6, v17, vcc_lo
	;; [unrolled: 1-line block ×4, first 2 shown]
	v_cmp_ge_i64_e32 vcc_lo, v[6:7], v[12:13]
	s_or_b32 s4, vcc_lo, s4
	s_andn2_b32 exec_lo, exec_lo, s4
	s_cbranch_execnz .LBB26_55
; %bb.56:
	s_or_b32 exec_lo, exec_lo, s4
.LBB26_57:
	s_or_b32 exec_lo, exec_lo, s0
	v_mov_b32_e32 v12, 0
	v_mov_b32_e32 v15, v11
	;; [unrolled: 1-line block ×4, first 2 shown]
	s_mov_b32 s0, exec_lo
	v_cmpx_lt_i64_e32 0, v[10:11]
	s_cbranch_execnz .LBB26_62
; %bb.58:
	s_or_b32 exec_lo, exec_lo, s0
	s_mov_b32 s0, exec_lo
	v_cmpx_lt_i64_e64 v[12:13], v[14:15]
	s_cbranch_execnz .LBB26_63
.LBB26_59:
	s_or_b32 exec_lo, exec_lo, s0
	s_mov_b32 s0, exec_lo
	v_cmpx_lt_i64_e64 v[12:13], v[14:15]
	s_cbranch_execnz .LBB26_64
.LBB26_60:
	s_or_b32 exec_lo, exec_lo, s0
	s_mov_b32 s0, exec_lo
	v_cmpx_lt_i64_e64 v[12:13], v[14:15]
	s_cbranch_execnz .LBB26_65
.LBB26_61:
	s_or_b32 exec_lo, exec_lo, s0
	s_mov_b32 s0, exec_lo
	v_cmpx_lt_i64_e64 v[12:13], v[14:15]
	s_cbranch_execnz .LBB26_66
	s_branch .LBB26_69
.LBB26_62:
	v_mad_u64_u32 v[12:13], null, 0x1ff, v10, 0
	v_mad_u64_u32 v[13:14], null, 0x1ff, v11, v[13:14]
	v_lshrrev_b64 v[14:15], 9, v[12:13]
	v_lshlrev_b64 v[12:13], 2, v[14:15]
	v_add_co_u32 v12, vcc_lo, s2, v12
	v_add_co_ci_u32_e64 v13, null, s3, v13, vcc_lo
	v_add_co_u32 v16, vcc_lo, v14, 1
	global_load_dword v12, v[12:13], off
	v_add_co_ci_u32_e64 v13, null, 0, v15, vcc_lo
	s_waitcnt vmcnt(0)
	v_cmp_lt_i32_e32 vcc_lo, v12, v18
	v_cndmask_b32_e32 v13, 0, v13, vcc_lo
	v_cndmask_b32_e32 v12, 0, v16, vcc_lo
	;; [unrolled: 1-line block ×4, first 2 shown]
	s_or_b32 exec_lo, exec_lo, s0
	s_mov_b32 s0, exec_lo
	v_cmpx_lt_i64_e64 v[12:13], v[14:15]
	s_cbranch_execz .LBB26_59
.LBB26_63:
	v_mad_u64_u32 v[16:17], null, 0x7f, v14, v[12:13]
	s_waitcnt vmcnt(0)
	v_mad_u64_u32 v[19:20], null, 0x7f, v15, v[17:18]
	v_mov_b32_e32 v17, v19
	v_lshrrev_b64 v[16:17], 7, v[16:17]
	v_lshlrev_b64 v[19:20], 2, v[16:17]
	v_add_co_u32 v19, vcc_lo, s2, v19
	v_add_co_ci_u32_e64 v20, null, s3, v20, vcc_lo
	global_load_dword v19, v[19:20], off
	v_add_co_u32 v20, vcc_lo, v16, 1
	v_add_co_ci_u32_e64 v21, null, 0, v17, vcc_lo
	s_waitcnt vmcnt(0)
	v_cmp_lt_i32_e32 vcc_lo, v19, v18
	v_cndmask_b32_e32 v13, v13, v21, vcc_lo
	v_cndmask_b32_e32 v12, v12, v20, vcc_lo
	;; [unrolled: 1-line block ×4, first 2 shown]
	s_or_b32 exec_lo, exec_lo, s0
	s_mov_b32 s0, exec_lo
	v_cmpx_lt_i64_e64 v[12:13], v[14:15]
	s_cbranch_execz .LBB26_60
.LBB26_64:
	v_mad_u64_u32 v[16:17], null, v14, 31, v[12:13]
	s_waitcnt vmcnt(0)
	v_mad_u64_u32 v[19:20], null, v15, 31, v[17:18]
	v_mov_b32_e32 v17, v19
	v_lshrrev_b64 v[16:17], 5, v[16:17]
	v_lshlrev_b64 v[19:20], 2, v[16:17]
	v_add_co_u32 v19, vcc_lo, s2, v19
	v_add_co_ci_u32_e64 v20, null, s3, v20, vcc_lo
	global_load_dword v19, v[19:20], off
	v_add_co_u32 v20, vcc_lo, v16, 1
	v_add_co_ci_u32_e64 v21, null, 0, v17, vcc_lo
	s_waitcnt vmcnt(0)
	v_cmp_lt_i32_e32 vcc_lo, v19, v18
	v_cndmask_b32_e32 v13, v13, v21, vcc_lo
	v_cndmask_b32_e32 v12, v12, v20, vcc_lo
	;; [unrolled: 1-line block ×4, first 2 shown]
	s_or_b32 exec_lo, exec_lo, s0
	s_mov_b32 s0, exec_lo
	v_cmpx_lt_i64_e64 v[12:13], v[14:15]
	s_cbranch_execz .LBB26_61
.LBB26_65:
	v_mad_u64_u32 v[16:17], null, v14, 15, v[12:13]
	s_waitcnt vmcnt(0)
	v_mad_u64_u32 v[19:20], null, v15, 15, v[17:18]
	v_mov_b32_e32 v17, v19
	v_lshrrev_b64 v[16:17], 4, v[16:17]
	v_lshlrev_b64 v[19:20], 2, v[16:17]
	v_add_co_u32 v19, vcc_lo, s2, v19
	v_add_co_ci_u32_e64 v20, null, s3, v20, vcc_lo
	global_load_dword v19, v[19:20], off
	v_add_co_u32 v20, vcc_lo, v16, 1
	v_add_co_ci_u32_e64 v21, null, 0, v17, vcc_lo
	s_waitcnt vmcnt(0)
	v_cmp_lt_i32_e32 vcc_lo, v19, v18
	v_cndmask_b32_e32 v13, v13, v21, vcc_lo
	v_cndmask_b32_e32 v12, v12, v20, vcc_lo
	;; [unrolled: 1-line block ×4, first 2 shown]
	s_or_b32 exec_lo, exec_lo, s0
	s_mov_b32 s0, exec_lo
	v_cmpx_lt_i64_e64 v[12:13], v[14:15]
	s_cbranch_execz .LBB26_69
.LBB26_66:
	s_mov_b32 s4, 0
	.p2align	6
.LBB26_67:                              ; =>This Inner Loop Header: Depth=1
	v_add_co_u32 v16, vcc_lo, v12, v14
	v_add_co_ci_u32_e64 v17, null, v13, v15, vcc_lo
	v_lshrrev_b64 v[16:17], 1, v[16:17]
	s_waitcnt vmcnt(1)
	v_lshlrev_b64 v[19:20], 2, v[16:17]
	v_add_co_u32 v19, vcc_lo, s2, v19
	v_add_co_ci_u32_e64 v20, null, s3, v20, vcc_lo
	global_load_dword v19, v[19:20], off
	v_add_co_u32 v20, vcc_lo, v16, 1
	v_add_co_ci_u32_e64 v21, null, 0, v17, vcc_lo
	s_waitcnt vmcnt(0)
	v_cmp_lt_i32_e32 vcc_lo, v19, v18
	v_cndmask_b32_e32 v13, v13, v21, vcc_lo
	v_cndmask_b32_e32 v12, v12, v20, vcc_lo
	;; [unrolled: 1-line block ×4, first 2 shown]
	v_cmp_ge_i64_e32 vcc_lo, v[12:13], v[14:15]
	s_or_b32 s4, vcc_lo, s4
	s_andn2_b32 exec_lo, exec_lo, s4
	s_cbranch_execnz .LBB26_67
; %bb.68:
	s_or_b32 exec_lo, exec_lo, s4
.LBB26_69:
	s_or_b32 exec_lo, exec_lo, s0
	v_sub_co_u32 v0, vcc_lo, v0, v6
	v_sub_co_ci_u32_e64 v1, null, v1, v7, vcc_lo
	v_sub_co_u32 v16, vcc_lo, v10, v12
	v_sub_co_ci_u32_e64 v17, null, v11, v13, vcc_lo
	s_mov_b32 s0, exec_lo
	v_add_co_u32 v14, vcc_lo, v16, v0
	v_add_co_ci_u32_e64 v15, null, v17, v1, vcc_lo
	v_ashrrev_i64 v[0:1], 1, v[14:15]
	v_cmp_gt_i64_e32 vcc_lo, v[0:1], v[16:17]
	v_cndmask_b32_e32 v0, v16, v0, vcc_lo
	v_cndmask_b32_e32 v1, v17, v1, vcc_lo
	v_add_co_u32 v12, vcc_lo, v12, v0
	v_add_co_ci_u32_e64 v13, null, v13, v1, vcc_lo
	v_add_co_u32 v12, vcc_lo, v12, 1
	v_add_co_ci_u32_e64 v13, null, 0, v13, vcc_lo
	v_cmp_gt_i64_e32 vcc_lo, s[10:11], v[12:13]
	v_cndmask_b32_e32 v12, s10, v12, vcc_lo
	v_cndmask_b32_e32 v13, s11, v13, vcc_lo
	v_sub_co_u32 v12, vcc_lo, v12, v10
	v_sub_co_ci_u32_e64 v13, null, v13, v11, vcc_lo
	v_mov_b32_e32 v10, 0
	v_mov_b32_e32 v11, 0
	v_cmpx_lt_i64_e32 0, v[12:13]
	s_cbranch_execz .LBB26_73
; %bb.70:
	v_mov_b32_e32 v10, 0
	v_mov_b32_e32 v11, 0
	s_mov_b32 s2, 0
	.p2align	6
.LBB26_71:                              ; =>This Inner Loop Header: Depth=1
	s_waitcnt vmcnt(1)
	v_add_co_u32 v19, vcc_lo, v10, v12
	v_add_co_ci_u32_e64 v20, null, v11, v13, vcc_lo
	v_lshrrev_b64 v[19:20], 1, v[19:20]
	v_lshlrev_b64 v[21:22], 2, v[19:20]
	v_add_co_u32 v21, vcc_lo, v8, v21
	v_add_co_ci_u32_e64 v22, null, v9, v22, vcc_lo
	global_load_dword v21, v[21:22], off
	v_add_co_u32 v22, vcc_lo, v19, 1
	v_add_co_ci_u32_e64 v23, null, 0, v20, vcc_lo
	s_waitcnt vmcnt(0)
	v_cmp_lt_i32_e32 vcc_lo, v18, v21
	v_cndmask_b32_e32 v11, v23, v11, vcc_lo
	v_cndmask_b32_e32 v10, v22, v10, vcc_lo
	v_cndmask_b32_e32 v13, v13, v20, vcc_lo
	v_cndmask_b32_e32 v12, v12, v19, vcc_lo
	v_cmp_ge_i64_e32 vcc_lo, v[10:11], v[12:13]
	s_or_b32 s2, vcc_lo, s2
	s_andn2_b32 exec_lo, exec_lo, s2
	s_cbranch_execnz .LBB26_71
; %bb.72:
	s_or_b32 exec_lo, exec_lo, s2
	v_ashrrev_i32_e32 v11, 31, v10
.LBB26_73:
	s_or_b32 exec_lo, exec_lo, s0
	v_add_co_u32 v8, vcc_lo, v10, v16
	v_add_co_ci_u32_e64 v9, null, v11, v17, vcc_lo
	s_mov_b32 s2, 0
	v_cmp_lt_i64_e32 vcc_lo, v[8:9], v[0:1]
	v_cndmask_b32_e32 v12, v0, v8, vcc_lo
	v_cndmask_b32_e32 v13, v1, v9, vcc_lo
	v_sub_co_u32 v10, vcc_lo, v14, v12
	v_sub_co_ci_u32_e64 v11, null, v15, v13, vcc_lo
	v_add_co_u32 v12, vcc_lo, v12, 1
	v_add_co_ci_u32_e64 v13, null, 0, v13, vcc_lo
	v_cmp_lt_i64_e32 vcc_lo, v[0:1], v[8:9]
	v_mov_b32_e32 v9, s2
	v_cmp_eq_u64_e64 s0, v[10:11], v[12:13]
	s_and_b32 s0, s0, vcc_lo
	v_add_co_u32 v0, vcc_lo, v10, v6
	v_cndmask_b32_e64 v8, 0, 1, s0
	v_add_co_ci_u32_e64 v1, null, v11, v7, vcc_lo
.LBB26_74:
	s_or_b32 exec_lo, exec_lo, s1
	v_lshlrev_b64 v[2:3], 4, v[2:3]
	v_add_co_u32 v6, vcc_lo, v8, v4
	v_add_co_ci_u32_e64 v7, null, v9, v5, vcc_lo
	v_add_co_u32 v4, vcc_lo, s12, v2
	v_add_co_ci_u32_e64 v5, null, s13, v3, vcc_lo
	v_sub_co_u32 v2, vcc_lo, v6, v0
	v_sub_co_ci_u32_e64 v3, null, v7, v1, vcc_lo
	global_store_dwordx4 v[4:5], v[0:3], off
	s_endpgm
	.section	.rodata,"a",@progbits
	.p2align	6, 0x0
	.amdhsa_kernel _ZN6thrust23THRUST_200600_302600_NS11hip_rocprim14__parallel_for6kernelILj256EZNS1_16__set_operations9doit_stepILb0ENS0_6detail15normal_iteratorINS0_10device_ptrIKiEEEESB_PiSC_lNS7_INS8_IiEEEESC_NS0_4lessIiEENS4_31serial_set_symmetric_differenceEEE10hipError_tPvRmT0_T1_T2_T3_T4_SP_T5_T6_PSP_T7_T8_P12ihipStream_tbEUllE_jLj1EEEvSL_SM_SM_
		.amdhsa_group_segment_fixed_size 0
		.amdhsa_private_segment_fixed_size 0
		.amdhsa_kernarg_size 56
		.amdhsa_user_sgpr_count 6
		.amdhsa_user_sgpr_private_segment_buffer 1
		.amdhsa_user_sgpr_dispatch_ptr 0
		.amdhsa_user_sgpr_queue_ptr 0
		.amdhsa_user_sgpr_kernarg_segment_ptr 1
		.amdhsa_user_sgpr_dispatch_id 0
		.amdhsa_user_sgpr_flat_scratch_init 0
		.amdhsa_user_sgpr_private_segment_size 0
		.amdhsa_wavefront_size32 1
		.amdhsa_uses_dynamic_stack 0
		.amdhsa_system_sgpr_private_segment_wavefront_offset 0
		.amdhsa_system_sgpr_workgroup_id_x 1
		.amdhsa_system_sgpr_workgroup_id_y 0
		.amdhsa_system_sgpr_workgroup_id_z 0
		.amdhsa_system_sgpr_workgroup_info 0
		.amdhsa_system_vgpr_workitem_id 0
		.amdhsa_next_free_vgpr 25
		.amdhsa_next_free_sgpr 16
		.amdhsa_reserve_vcc 1
		.amdhsa_reserve_flat_scratch 0
		.amdhsa_float_round_mode_32 0
		.amdhsa_float_round_mode_16_64 0
		.amdhsa_float_denorm_mode_32 3
		.amdhsa_float_denorm_mode_16_64 3
		.amdhsa_dx10_clamp 1
		.amdhsa_ieee_mode 1
		.amdhsa_fp16_overflow 0
		.amdhsa_workgroup_processor_mode 1
		.amdhsa_memory_ordered 1
		.amdhsa_forward_progress 1
		.amdhsa_shared_vgpr_count 0
		.amdhsa_exception_fp_ieee_invalid_op 0
		.amdhsa_exception_fp_denorm_src 0
		.amdhsa_exception_fp_ieee_div_zero 0
		.amdhsa_exception_fp_ieee_overflow 0
		.amdhsa_exception_fp_ieee_underflow 0
		.amdhsa_exception_fp_ieee_inexact 0
		.amdhsa_exception_int_div_zero 0
	.end_amdhsa_kernel
	.section	.text._ZN6thrust23THRUST_200600_302600_NS11hip_rocprim14__parallel_for6kernelILj256EZNS1_16__set_operations9doit_stepILb0ENS0_6detail15normal_iteratorINS0_10device_ptrIKiEEEESB_PiSC_lNS7_INS8_IiEEEESC_NS0_4lessIiEENS4_31serial_set_symmetric_differenceEEE10hipError_tPvRmT0_T1_T2_T3_T4_SP_T5_T6_PSP_T7_T8_P12ihipStream_tbEUllE_jLj1EEEvSL_SM_SM_,"axG",@progbits,_ZN6thrust23THRUST_200600_302600_NS11hip_rocprim14__parallel_for6kernelILj256EZNS1_16__set_operations9doit_stepILb0ENS0_6detail15normal_iteratorINS0_10device_ptrIKiEEEESB_PiSC_lNS7_INS8_IiEEEESC_NS0_4lessIiEENS4_31serial_set_symmetric_differenceEEE10hipError_tPvRmT0_T1_T2_T3_T4_SP_T5_T6_PSP_T7_T8_P12ihipStream_tbEUllE_jLj1EEEvSL_SM_SM_,comdat
.Lfunc_end26:
	.size	_ZN6thrust23THRUST_200600_302600_NS11hip_rocprim14__parallel_for6kernelILj256EZNS1_16__set_operations9doit_stepILb0ENS0_6detail15normal_iteratorINS0_10device_ptrIKiEEEESB_PiSC_lNS7_INS8_IiEEEESC_NS0_4lessIiEENS4_31serial_set_symmetric_differenceEEE10hipError_tPvRmT0_T1_T2_T3_T4_SP_T5_T6_PSP_T7_T8_P12ihipStream_tbEUllE_jLj1EEEvSL_SM_SM_, .Lfunc_end26-_ZN6thrust23THRUST_200600_302600_NS11hip_rocprim14__parallel_for6kernelILj256EZNS1_16__set_operations9doit_stepILb0ENS0_6detail15normal_iteratorINS0_10device_ptrIKiEEEESB_PiSC_lNS7_INS8_IiEEEESC_NS0_4lessIiEENS4_31serial_set_symmetric_differenceEEE10hipError_tPvRmT0_T1_T2_T3_T4_SP_T5_T6_PSP_T7_T8_P12ihipStream_tbEUllE_jLj1EEEvSL_SM_SM_
                                        ; -- End function
	.set _ZN6thrust23THRUST_200600_302600_NS11hip_rocprim14__parallel_for6kernelILj256EZNS1_16__set_operations9doit_stepILb0ENS0_6detail15normal_iteratorINS0_10device_ptrIKiEEEESB_PiSC_lNS7_INS8_IiEEEESC_NS0_4lessIiEENS4_31serial_set_symmetric_differenceEEE10hipError_tPvRmT0_T1_T2_T3_T4_SP_T5_T6_PSP_T7_T8_P12ihipStream_tbEUllE_jLj1EEEvSL_SM_SM_.num_vgpr, 25
	.set _ZN6thrust23THRUST_200600_302600_NS11hip_rocprim14__parallel_for6kernelILj256EZNS1_16__set_operations9doit_stepILb0ENS0_6detail15normal_iteratorINS0_10device_ptrIKiEEEESB_PiSC_lNS7_INS8_IiEEEESC_NS0_4lessIiEENS4_31serial_set_symmetric_differenceEEE10hipError_tPvRmT0_T1_T2_T3_T4_SP_T5_T6_PSP_T7_T8_P12ihipStream_tbEUllE_jLj1EEEvSL_SM_SM_.num_agpr, 0
	.set _ZN6thrust23THRUST_200600_302600_NS11hip_rocprim14__parallel_for6kernelILj256EZNS1_16__set_operations9doit_stepILb0ENS0_6detail15normal_iteratorINS0_10device_ptrIKiEEEESB_PiSC_lNS7_INS8_IiEEEESC_NS0_4lessIiEENS4_31serial_set_symmetric_differenceEEE10hipError_tPvRmT0_T1_T2_T3_T4_SP_T5_T6_PSP_T7_T8_P12ihipStream_tbEUllE_jLj1EEEvSL_SM_SM_.numbered_sgpr, 16
	.set _ZN6thrust23THRUST_200600_302600_NS11hip_rocprim14__parallel_for6kernelILj256EZNS1_16__set_operations9doit_stepILb0ENS0_6detail15normal_iteratorINS0_10device_ptrIKiEEEESB_PiSC_lNS7_INS8_IiEEEESC_NS0_4lessIiEENS4_31serial_set_symmetric_differenceEEE10hipError_tPvRmT0_T1_T2_T3_T4_SP_T5_T6_PSP_T7_T8_P12ihipStream_tbEUllE_jLj1EEEvSL_SM_SM_.num_named_barrier, 0
	.set _ZN6thrust23THRUST_200600_302600_NS11hip_rocprim14__parallel_for6kernelILj256EZNS1_16__set_operations9doit_stepILb0ENS0_6detail15normal_iteratorINS0_10device_ptrIKiEEEESB_PiSC_lNS7_INS8_IiEEEESC_NS0_4lessIiEENS4_31serial_set_symmetric_differenceEEE10hipError_tPvRmT0_T1_T2_T3_T4_SP_T5_T6_PSP_T7_T8_P12ihipStream_tbEUllE_jLj1EEEvSL_SM_SM_.private_seg_size, 0
	.set _ZN6thrust23THRUST_200600_302600_NS11hip_rocprim14__parallel_for6kernelILj256EZNS1_16__set_operations9doit_stepILb0ENS0_6detail15normal_iteratorINS0_10device_ptrIKiEEEESB_PiSC_lNS7_INS8_IiEEEESC_NS0_4lessIiEENS4_31serial_set_symmetric_differenceEEE10hipError_tPvRmT0_T1_T2_T3_T4_SP_T5_T6_PSP_T7_T8_P12ihipStream_tbEUllE_jLj1EEEvSL_SM_SM_.uses_vcc, 1
	.set _ZN6thrust23THRUST_200600_302600_NS11hip_rocprim14__parallel_for6kernelILj256EZNS1_16__set_operations9doit_stepILb0ENS0_6detail15normal_iteratorINS0_10device_ptrIKiEEEESB_PiSC_lNS7_INS8_IiEEEESC_NS0_4lessIiEENS4_31serial_set_symmetric_differenceEEE10hipError_tPvRmT0_T1_T2_T3_T4_SP_T5_T6_PSP_T7_T8_P12ihipStream_tbEUllE_jLj1EEEvSL_SM_SM_.uses_flat_scratch, 0
	.set _ZN6thrust23THRUST_200600_302600_NS11hip_rocprim14__parallel_for6kernelILj256EZNS1_16__set_operations9doit_stepILb0ENS0_6detail15normal_iteratorINS0_10device_ptrIKiEEEESB_PiSC_lNS7_INS8_IiEEEESC_NS0_4lessIiEENS4_31serial_set_symmetric_differenceEEE10hipError_tPvRmT0_T1_T2_T3_T4_SP_T5_T6_PSP_T7_T8_P12ihipStream_tbEUllE_jLj1EEEvSL_SM_SM_.has_dyn_sized_stack, 0
	.set _ZN6thrust23THRUST_200600_302600_NS11hip_rocprim14__parallel_for6kernelILj256EZNS1_16__set_operations9doit_stepILb0ENS0_6detail15normal_iteratorINS0_10device_ptrIKiEEEESB_PiSC_lNS7_INS8_IiEEEESC_NS0_4lessIiEENS4_31serial_set_symmetric_differenceEEE10hipError_tPvRmT0_T1_T2_T3_T4_SP_T5_T6_PSP_T7_T8_P12ihipStream_tbEUllE_jLj1EEEvSL_SM_SM_.has_recursion, 0
	.set _ZN6thrust23THRUST_200600_302600_NS11hip_rocprim14__parallel_for6kernelILj256EZNS1_16__set_operations9doit_stepILb0ENS0_6detail15normal_iteratorINS0_10device_ptrIKiEEEESB_PiSC_lNS7_INS8_IiEEEESC_NS0_4lessIiEENS4_31serial_set_symmetric_differenceEEE10hipError_tPvRmT0_T1_T2_T3_T4_SP_T5_T6_PSP_T7_T8_P12ihipStream_tbEUllE_jLj1EEEvSL_SM_SM_.has_indirect_call, 0
	.section	.AMDGPU.csdata,"",@progbits
; Kernel info:
; codeLenInByte = 4980
; TotalNumSgprs: 18
; NumVgprs: 25
; ScratchSize: 0
; MemoryBound: 0
; FloatMode: 240
; IeeeMode: 1
; LDSByteSize: 0 bytes/workgroup (compile time only)
; SGPRBlocks: 0
; VGPRBlocks: 3
; NumSGPRsForWavesPerEU: 18
; NumVGPRsForWavesPerEU: 25
; Occupancy: 16
; WaveLimiterHint : 0
; COMPUTE_PGM_RSRC2:SCRATCH_EN: 0
; COMPUTE_PGM_RSRC2:USER_SGPR: 6
; COMPUTE_PGM_RSRC2:TRAP_HANDLER: 0
; COMPUTE_PGM_RSRC2:TGID_X_EN: 1
; COMPUTE_PGM_RSRC2:TGID_Y_EN: 0
; COMPUTE_PGM_RSRC2:TGID_Z_EN: 0
; COMPUTE_PGM_RSRC2:TIDIG_COMP_CNT: 0
	.section	.text._ZN6thrust23THRUST_200600_302600_NS11hip_rocprim16__set_operations22lookback_set_op_kernelIN7rocprim17ROCPRIM_400000_NS13kernel_configILj256ELj16ELj4294967295EEELb0ENS0_6detail15normal_iteratorINS0_10device_ptrIKiEEEESD_PiSE_lNS9_INSA_IiEEEESE_NS0_4lessIiEENS2_31serial_set_symmetric_differenceENS5_6detail19lookback_scan_stateIlLb0ELb1EEEEEvT1_T2_T3_T4_T6_T7_T8_T9_PNS0_4pairIT5_SW_EEPSW_T10_NSK_16ordered_block_idIjEE,"axG",@progbits,_ZN6thrust23THRUST_200600_302600_NS11hip_rocprim16__set_operations22lookback_set_op_kernelIN7rocprim17ROCPRIM_400000_NS13kernel_configILj256ELj16ELj4294967295EEELb0ENS0_6detail15normal_iteratorINS0_10device_ptrIKiEEEESD_PiSE_lNS9_INSA_IiEEEESE_NS0_4lessIiEENS2_31serial_set_symmetric_differenceENS5_6detail19lookback_scan_stateIlLb0ELb1EEEEEvT1_T2_T3_T4_T6_T7_T8_T9_PNS0_4pairIT5_SW_EEPSW_T10_NSK_16ordered_block_idIjEE,comdat
	.protected	_ZN6thrust23THRUST_200600_302600_NS11hip_rocprim16__set_operations22lookback_set_op_kernelIN7rocprim17ROCPRIM_400000_NS13kernel_configILj256ELj16ELj4294967295EEELb0ENS0_6detail15normal_iteratorINS0_10device_ptrIKiEEEESD_PiSE_lNS9_INSA_IiEEEESE_NS0_4lessIiEENS2_31serial_set_symmetric_differenceENS5_6detail19lookback_scan_stateIlLb0ELb1EEEEEvT1_T2_T3_T4_T6_T7_T8_T9_PNS0_4pairIT5_SW_EEPSW_T10_NSK_16ordered_block_idIjEE ; -- Begin function _ZN6thrust23THRUST_200600_302600_NS11hip_rocprim16__set_operations22lookback_set_op_kernelIN7rocprim17ROCPRIM_400000_NS13kernel_configILj256ELj16ELj4294967295EEELb0ENS0_6detail15normal_iteratorINS0_10device_ptrIKiEEEESD_PiSE_lNS9_INSA_IiEEEESE_NS0_4lessIiEENS2_31serial_set_symmetric_differenceENS5_6detail19lookback_scan_stateIlLb0ELb1EEEEEvT1_T2_T3_T4_T6_T7_T8_T9_PNS0_4pairIT5_SW_EEPSW_T10_NSK_16ordered_block_idIjEE
	.globl	_ZN6thrust23THRUST_200600_302600_NS11hip_rocprim16__set_operations22lookback_set_op_kernelIN7rocprim17ROCPRIM_400000_NS13kernel_configILj256ELj16ELj4294967295EEELb0ENS0_6detail15normal_iteratorINS0_10device_ptrIKiEEEESD_PiSE_lNS9_INSA_IiEEEESE_NS0_4lessIiEENS2_31serial_set_symmetric_differenceENS5_6detail19lookback_scan_stateIlLb0ELb1EEEEEvT1_T2_T3_T4_T6_T7_T8_T9_PNS0_4pairIT5_SW_EEPSW_T10_NSK_16ordered_block_idIjEE
	.p2align	8
	.type	_ZN6thrust23THRUST_200600_302600_NS11hip_rocprim16__set_operations22lookback_set_op_kernelIN7rocprim17ROCPRIM_400000_NS13kernel_configILj256ELj16ELj4294967295EEELb0ENS0_6detail15normal_iteratorINS0_10device_ptrIKiEEEESD_PiSE_lNS9_INSA_IiEEEESE_NS0_4lessIiEENS2_31serial_set_symmetric_differenceENS5_6detail19lookback_scan_stateIlLb0ELb1EEEEEvT1_T2_T3_T4_T6_T7_T8_T9_PNS0_4pairIT5_SW_EEPSW_T10_NSK_16ordered_block_idIjEE,@function
_ZN6thrust23THRUST_200600_302600_NS11hip_rocprim16__set_operations22lookback_set_op_kernelIN7rocprim17ROCPRIM_400000_NS13kernel_configILj256ELj16ELj4294967295EEELb0ENS0_6detail15normal_iteratorINS0_10device_ptrIKiEEEESD_PiSE_lNS9_INSA_IiEEEESE_NS0_4lessIiEENS2_31serial_set_symmetric_differenceENS5_6detail19lookback_scan_stateIlLb0ELb1EEEEEvT1_T2_T3_T4_T6_T7_T8_T9_PNS0_4pairIT5_SW_EEPSW_T10_NSK_16ordered_block_idIjEE: ; @_ZN6thrust23THRUST_200600_302600_NS11hip_rocprim16__set_operations22lookback_set_op_kernelIN7rocprim17ROCPRIM_400000_NS13kernel_configILj256ELj16ELj4294967295EEELb0ENS0_6detail15normal_iteratorINS0_10device_ptrIKiEEEESD_PiSE_lNS9_INSA_IiEEEESE_NS0_4lessIiEENS2_31serial_set_symmetric_differenceENS5_6detail19lookback_scan_stateIlLb0ELb1EEEEEvT1_T2_T3_T4_T6_T7_T8_T9_PNS0_4pairIT5_SW_EEPSW_T10_NSK_16ordered_block_idIjEE
; %bb.0:
	s_clause 0x2
	s_load_dword s1, s[4:5], 0x64
	s_load_dword s0, s[4:5], 0x58
	s_load_dwordx8 s[36:43], s[4:5], 0x38
	s_waitcnt lgkmcnt(0)
	s_lshr_b32 s2, s1, 16
	s_and_b32 s1, s1, 0xffff
	v_mad_u32_u24 v1, v2, s2, v1
	v_sub_nc_u32_e32 v2, 0, v0
	v_mul_lo_u32 v1, v1, s1
	s_mov_b32 s1, exec_lo
	v_cmpx_eq_u32_e64 v1, v2
	s_cbranch_execz .LBB27_4
; %bb.1:
	s_mov_b32 s3, exec_lo
	s_mov_b32 s2, exec_lo
	v_mbcnt_lo_u32_b32 v1, s3, 0
                                        ; implicit-def: $vgpr2
	v_cmpx_eq_u32_e32 0, v1
	s_cbranch_execz .LBB27_3
; %bb.2:
	s_bcnt1_i32_b32 s3, s3
	v_mov_b32_e32 v2, 0
	v_mov_b32_e32 v3, s3
	global_atomic_add v2, v2, v3, s[42:43] glc
.LBB27_3:
	s_or_b32 exec_lo, exec_lo, s2
	s_waitcnt vmcnt(0)
	v_readfirstlane_b32 s2, v2
	v_mov_b32_e32 v2, 0
	v_add_nc_u32_e32 v1, s2, v1
	ds_write_b32 v2, v1 offset:36864
.LBB27_4:
	s_or_b32 exec_lo, exec_lo, s1
	v_mov_b32_e32 v1, 0
	s_waitcnt lgkmcnt(0)
	s_barrier
	buffer_gl0_inv
	s_add_i32 s6, s0, -1
	ds_read_b32 v10, v1 offset:36864
	s_load_dwordx2 s[42:43], s[4:5], 0x20
	s_waitcnt lgkmcnt(0)
	v_readfirstlane_b32 s44, v10
	v_cmp_le_i32_e32 vcc_lo, s6, v10
	s_ashr_i32 s45, s44, 31
	s_lshl_b64 s[2:3], s[44:45], 4
	s_add_u32 s0, s36, s2
	s_addc_u32 s1, s37, s3
	s_clause 0x1
	global_load_dwordx4 v[2:5], v1, s[0:1]
	global_load_dwordx4 v[6:9], v1, s[0:1] offset:16
	s_load_dwordx4 s[0:3], s[4:5], 0x0
	s_and_b32 vcc_lo, exec_lo, vcc_lo
	s_waitcnt vmcnt(1)
	v_readfirstlane_b32 s7, v2
	s_waitcnt vmcnt(0)
	v_sub_nc_u32_e32 v17, v8, v4
	v_lshlrev_b64 v[4:5], 2, v[4:5]
	v_readfirstlane_b32 s4, v6
	v_mov_b32_e32 v2, s7
	s_sub_i32 s37, s4, s7
	v_lshlrev_b64 v[2:3], 2, v[2:3]
	s_waitcnt lgkmcnt(0)
	v_add_co_u32 v20, s0, s0, v2
	v_add_co_ci_u32_e64 v21, null, s1, v3, s0
	v_add_co_u32 v18, s0, s2, v4
	v_add_co_ci_u32_e64 v19, null, s3, v5, s0
	s_mov_b32 s0, -1
	s_cbranch_vccz .LBB27_251
; %bb.5:
	v_add_nc_u32_e32 v3, s37, v17
	v_mov_b32_e32 v2, v1
	v_mov_b32_e32 v4, v1
	;; [unrolled: 1-line block ×15, first 2 shown]
	s_mov_b32 s0, exec_lo
	v_cmpx_lt_i32_e64 v0, v3
	s_cbranch_execz .LBB27_7
; %bb.6:
	v_mov_b32_e32 v2, 0
	v_subrev_nc_u32_e32 v1, s37, v0
	v_lshlrev_b32_e32 v6, 2, v0
	v_mov_b32_e32 v7, v2
	v_lshlrev_b64 v[4:5], 2, v[1:2]
	v_add_co_u32 v1, vcc_lo, v20, v6
	v_add_co_ci_u32_e64 v6, null, 0, v21, vcc_lo
	v_mov_b32_e32 v8, v2
	v_add_co_u32 v4, vcc_lo, v18, v4
	v_add_co_ci_u32_e64 v5, null, v19, v5, vcc_lo
	v_cmp_gt_i32_e32 vcc_lo, s37, v0
	v_mov_b32_e32 v9, v2
	v_mov_b32_e32 v10, v2
	;; [unrolled: 1-line block ×4, first 2 shown]
	v_cndmask_b32_e32 v5, v5, v6, vcc_lo
	v_cndmask_b32_e32 v4, v4, v1, vcc_lo
	v_mov_b32_e32 v6, v2
	v_mov_b32_e32 v14, v2
	v_mov_b32_e32 v13, v2
	v_mov_b32_e32 v15, v2
	global_load_dword v1, v[4:5], off
	v_mov_b32_e32 v4, v2
	v_mov_b32_e32 v5, v2
	;; [unrolled: 1-line block ×4, first 2 shown]
.LBB27_7:
	s_or_b32 exec_lo, exec_lo, s0
	v_or_b32_e32 v22, 0x100, v0
	s_mov_b32 s0, exec_lo
	v_cmpx_lt_i32_e64 v22, v3
	s_cbranch_execz .LBB27_9
; %bb.8:
	v_lshlrev_b32_e32 v2, 2, v0
	v_mov_b32_e32 v25, 0
	v_subrev_nc_u32_e32 v24, s37, v22
	v_add_co_u32 v2, vcc_lo, v20, v2
	v_lshlrev_b64 v[24:25], 2, v[24:25]
	v_add_co_ci_u32_e64 v26, null, 0, v21, vcc_lo
	v_add_co_u32 v2, vcc_lo, 0x400, v2
	v_add_co_ci_u32_e64 v26, null, 0, v26, vcc_lo
	v_add_co_u32 v24, vcc_lo, v18, v24
	v_add_co_ci_u32_e64 v25, null, v19, v25, vcc_lo
	v_cmp_gt_i32_e32 vcc_lo, s37, v22
	v_cndmask_b32_e32 v25, v25, v26, vcc_lo
	v_cndmask_b32_e32 v24, v24, v2, vcc_lo
	global_load_dword v2, v[24:25], off
.LBB27_9:
	s_or_b32 exec_lo, exec_lo, s0
	v_or_b32_e32 v22, 0x200, v0
	s_mov_b32 s0, exec_lo
	v_cmpx_lt_i32_e64 v22, v3
	s_cbranch_execz .LBB27_11
; %bb.10:
	v_mov_b32_e32 v25, 0
	v_subrev_nc_u32_e32 v24, s37, v22
	v_lshlrev_b32_e32 v4, 2, v22
	v_lshlrev_b64 v[24:25], 2, v[24:25]
	v_add_co_u32 v4, vcc_lo, v20, v4
	v_add_co_ci_u32_e64 v26, null, 0, v21, vcc_lo
	v_add_co_u32 v24, vcc_lo, v18, v24
	v_add_co_ci_u32_e64 v25, null, v19, v25, vcc_lo
	v_cmp_gt_i32_e32 vcc_lo, s37, v22
	v_cndmask_b32_e32 v25, v25, v26, vcc_lo
	v_cndmask_b32_e32 v24, v24, v4, vcc_lo
	global_load_dword v4, v[24:25], off
.LBB27_11:
	s_or_b32 exec_lo, exec_lo, s0
	v_or_b32_e32 v22, 0x300, v0
	s_mov_b32 s0, exec_lo
	v_cmpx_lt_i32_e64 v22, v3
	s_cbranch_execz .LBB27_13
; %bb.12:
	v_mov_b32_e32 v25, 0
	v_subrev_nc_u32_e32 v24, s37, v22
	v_lshlrev_b32_e32 v6, 2, v22
	v_lshlrev_b64 v[24:25], 2, v[24:25]
	v_add_co_u32 v6, vcc_lo, v20, v6
	v_add_co_ci_u32_e64 v26, null, 0, v21, vcc_lo
	v_add_co_u32 v24, vcc_lo, v18, v24
	v_add_co_ci_u32_e64 v25, null, v19, v25, vcc_lo
	v_cmp_gt_i32_e32 vcc_lo, s37, v22
	v_cndmask_b32_e32 v25, v25, v26, vcc_lo
	v_cndmask_b32_e32 v24, v24, v6, vcc_lo
	global_load_dword v6, v[24:25], off
.LBB27_13:
	;; [unrolled: 19-line block ×14, first 2 shown]
	s_or_b32 exec_lo, exec_lo, s0
	v_lshlrev_b32_e32 v24, 4, v0
	v_lshlrev_b32_e32 v22, 2, v0
	s_lshl_b32 s0, s37, 2
	s_mov_b32 s2, 0
	s_addk_i32 s0, 0x4800
	v_min_i32_e32 v3, v3, v24
	s_waitcnt vmcnt(0)
	ds_write2st64_b32 v22, v1, v2 offset0:76 offset1:80
	ds_write2st64_b32 v22, v4, v6 offset0:84 offset1:88
	s_mov_b32 s1, exec_lo
	ds_write2st64_b32 v22, v5, v7 offset0:92 offset1:96
	ds_write2st64_b32 v22, v8, v9 offset0:100 offset1:104
	;; [unrolled: 1-line block ×6, first 2 shown]
	v_sub_nc_u32_e32 v1, v3, v17
	v_min_i32_e32 v2, s37, v3
	s_waitcnt lgkmcnt(0)
	s_barrier
	buffer_gl0_inv
	v_max_i32_e32 v1, 0, v1
	v_cmpx_lt_i32_e64 v1, v2
	s_cbranch_execz .LBB27_41
; %bb.38:
	v_lshlrev_b32_e32 v4, 2, v3
	v_add3_u32 v4, s0, v4, 0x400
	.p2align	6
.LBB27_39:                              ; =>This Inner Loop Header: Depth=1
	v_add_nc_u32_e32 v5, v2, v1
	v_lshrrev_b32_e32 v5, 1, v5
	v_not_b32_e32 v6, v5
	v_lshlrev_b32_e32 v7, 2, v5
	v_add_nc_u32_e32 v8, 1, v5
	v_lshl_add_u32 v6, v6, 2, v4
	ds_read_b32 v7, v7 offset:19456
	ds_read_b32 v6, v6
	s_waitcnt lgkmcnt(0)
	v_cmp_lt_i32_e32 vcc_lo, v6, v7
	v_cndmask_b32_e32 v2, v2, v5, vcc_lo
	v_cndmask_b32_e32 v1, v8, v1, vcc_lo
	v_cmp_ge_i32_e32 vcc_lo, v1, v2
	s_or_b32 s2, vcc_lo, s2
	s_andn2_b32 exec_lo, exec_lo, s2
	s_cbranch_execnz .LBB27_39
; %bb.40:
	s_or_b32 exec_lo, exec_lo, s2
.LBB27_41:
	s_or_b32 exec_lo, exec_lo, s1
	v_or_b32_e32 v4, 0x4800, v22
	v_sub_nc_u32_e32 v7, v3, v1
	v_mov_b32_e32 v5, 0
	s_mov_b32 s1, exec_lo
	v_cmpx_lt_i32_e64 v7, v17
	s_cbranch_execz .LBB27_71
; %bb.42:
	v_lshl_add_u32 v5, v7, 2, s0
	v_mov_b32_e32 v2, 0
	v_mov_b32_e32 v8, 0
	s_mov_b32 s2, exec_lo
	ds_read_b32 v6, v5 offset:1024
	v_cmpx_lt_i32_e32 0, v1
	s_cbranch_execnz .LBB27_47
; %bb.43:
	s_or_b32 exec_lo, exec_lo, s2
	s_mov_b32 s2, exec_lo
	v_cmpx_lt_i32_e64 v2, v8
	s_cbranch_execnz .LBB27_48
.LBB27_44:
	s_or_b32 exec_lo, exec_lo, s2
	s_mov_b32 s2, exec_lo
	v_cmpx_lt_i32_e64 v2, v8
	s_cbranch_execnz .LBB27_49
.LBB27_45:
	s_or_b32 exec_lo, exec_lo, s2
	s_mov_b32 s2, exec_lo
	v_cmpx_lt_i32_e64 v2, v8
	s_cbranch_execnz .LBB27_50
.LBB27_46:
	s_or_b32 exec_lo, exec_lo, s2
	s_mov_b32 s2, exec_lo
	v_cmpx_lt_i32_e64 v2, v8
	s_cbranch_execnz .LBB27_51
	s_branch .LBB27_54
.LBB27_47:
	v_mul_lo_u32 v2, 0x1ff, v1
	v_ashrrev_i32_e32 v8, 9, v2
	v_lshlrev_b32_e32 v2, 2, v8
	v_add_nc_u32_e32 v9, 1, v8
	ds_read_b32 v2, v2 offset:19456
	s_waitcnt lgkmcnt(0)
	v_cmp_lt_i32_e32 vcc_lo, v2, v6
	v_cndmask_b32_e32 v2, 0, v9, vcc_lo
	v_cndmask_b32_e32 v8, v8, v1, vcc_lo
	s_or_b32 exec_lo, exec_lo, s2
	s_mov_b32 s2, exec_lo
	v_cmpx_lt_i32_e64 v2, v8
	s_cbranch_execz .LBB27_44
.LBB27_48:
	v_sub_nc_u32_e32 v9, v2, v8
	v_lshl_add_u32 v9, v8, 7, v9
	v_ashrrev_i32_e32 v9, 7, v9
	v_lshlrev_b32_e32 v10, 2, v9
	v_add_nc_u32_e32 v11, 1, v9
	ds_read_b32 v10, v10 offset:19456
	s_waitcnt lgkmcnt(0)
	v_cmp_lt_i32_e32 vcc_lo, v10, v6
	v_cndmask_b32_e32 v2, v2, v11, vcc_lo
	v_cndmask_b32_e32 v8, v9, v8, vcc_lo
	s_or_b32 exec_lo, exec_lo, s2
	s_mov_b32 s2, exec_lo
	v_cmpx_lt_i32_e64 v2, v8
	s_cbranch_execz .LBB27_45
.LBB27_49:
	v_sub_nc_u32_e32 v9, v2, v8
	v_lshl_add_u32 v9, v8, 5, v9
	v_ashrrev_i32_e32 v9, 5, v9
	v_lshlrev_b32_e32 v10, 2, v9
	v_add_nc_u32_e32 v11, 1, v9
	ds_read_b32 v10, v10 offset:19456
	s_waitcnt lgkmcnt(0)
	v_cmp_lt_i32_e32 vcc_lo, v10, v6
	v_cndmask_b32_e32 v2, v2, v11, vcc_lo
	v_cndmask_b32_e32 v8, v9, v8, vcc_lo
	s_or_b32 exec_lo, exec_lo, s2
	s_mov_b32 s2, exec_lo
	v_cmpx_lt_i32_e64 v2, v8
	s_cbranch_execz .LBB27_46
.LBB27_50:
	v_sub_nc_u32_e32 v9, v2, v8
	v_lshl_add_u32 v9, v8, 4, v9
	v_ashrrev_i32_e32 v9, 4, v9
	v_lshlrev_b32_e32 v10, 2, v9
	v_add_nc_u32_e32 v11, 1, v9
	ds_read_b32 v10, v10 offset:19456
	s_waitcnt lgkmcnt(0)
	v_cmp_lt_i32_e32 vcc_lo, v10, v6
	v_cndmask_b32_e32 v2, v2, v11, vcc_lo
	v_cndmask_b32_e32 v8, v9, v8, vcc_lo
	s_or_b32 exec_lo, exec_lo, s2
	s_mov_b32 s2, exec_lo
	v_cmpx_lt_i32_e64 v2, v8
	s_cbranch_execz .LBB27_54
.LBB27_51:
	s_mov_b32 s3, 0
.LBB27_52:                              ; =>This Inner Loop Header: Depth=1
	v_sub_nc_u32_e32 v9, v2, v8
	v_lshl_add_u32 v9, v8, 1, v9
	v_ashrrev_i32_e32 v9, 1, v9
	v_lshlrev_b32_e32 v10, 2, v9
	v_add_nc_u32_e32 v11, 1, v9
	ds_read_b32 v10, v10 offset:19456
	s_waitcnt lgkmcnt(0)
	v_cmp_lt_i32_e32 vcc_lo, v10, v6
	v_cndmask_b32_e32 v2, v2, v11, vcc_lo
	v_cndmask_b32_e32 v8, v9, v8, vcc_lo
	v_cmp_ge_i32_e32 vcc_lo, v2, v8
	s_or_b32 s3, vcc_lo, s3
	s_andn2_b32 exec_lo, exec_lo, s3
	s_cbranch_execnz .LBB27_52
; %bb.53:
	s_or_b32 exec_lo, exec_lo, s3
.LBB27_54:
	s_or_b32 exec_lo, exec_lo, s2
	v_mov_b32_e32 v8, 0
	v_mov_b32_e32 v9, v7
	s_mov_b32 s2, exec_lo
	v_cmpx_lt_i32_e32 0, v7
	s_cbranch_execnz .LBB27_59
; %bb.55:
	s_or_b32 exec_lo, exec_lo, s2
	s_mov_b32 s2, exec_lo
	v_cmpx_lt_i32_e64 v8, v9
	s_cbranch_execnz .LBB27_60
.LBB27_56:
	s_or_b32 exec_lo, exec_lo, s2
	s_mov_b32 s2, exec_lo
	v_cmpx_lt_i32_e64 v8, v9
	s_cbranch_execnz .LBB27_61
.LBB27_57:
	s_or_b32 exec_lo, exec_lo, s2
	s_mov_b32 s2, exec_lo
	v_cmpx_lt_i32_e64 v8, v9
	s_cbranch_execnz .LBB27_62
.LBB27_58:
	s_or_b32 exec_lo, exec_lo, s2
	s_mov_b32 s2, exec_lo
	v_cmpx_lt_i32_e64 v8, v9
	s_cbranch_execnz .LBB27_63
	s_branch .LBB27_66
.LBB27_59:
	v_mul_lo_u32 v8, 0x1ff, v7
	v_lshrrev_b32_e32 v9, 9, v8
	v_lshl_add_u32 v8, v9, 2, s0
	v_add_nc_u32_e32 v10, 1, v9
	ds_read_b32 v8, v8 offset:1024
	s_waitcnt lgkmcnt(0)
	v_cmp_lt_i32_e32 vcc_lo, v8, v6
	v_cndmask_b32_e32 v8, 0, v10, vcc_lo
	v_cndmask_b32_e32 v9, v9, v7, vcc_lo
	s_or_b32 exec_lo, exec_lo, s2
	s_mov_b32 s2, exec_lo
	v_cmpx_lt_i32_e64 v8, v9
	s_cbranch_execz .LBB27_56
.LBB27_60:
	v_sub_nc_u32_e32 v10, v8, v9
	v_lshl_add_u32 v10, v9, 7, v10
	v_ashrrev_i32_e32 v10, 7, v10
	v_lshl_add_u32 v11, v10, 2, s0
	v_add_nc_u32_e32 v12, 1, v10
	ds_read_b32 v11, v11 offset:1024
	s_waitcnt lgkmcnt(0)
	v_cmp_lt_i32_e32 vcc_lo, v11, v6
	v_cndmask_b32_e32 v8, v8, v12, vcc_lo
	v_cndmask_b32_e32 v9, v10, v9, vcc_lo
	s_or_b32 exec_lo, exec_lo, s2
	s_mov_b32 s2, exec_lo
	v_cmpx_lt_i32_e64 v8, v9
	s_cbranch_execz .LBB27_57
.LBB27_61:
	v_sub_nc_u32_e32 v10, v8, v9
	v_lshl_add_u32 v10, v9, 5, v10
	v_ashrrev_i32_e32 v10, 5, v10
	v_lshl_add_u32 v11, v10, 2, s0
	v_add_nc_u32_e32 v12, 1, v10
	ds_read_b32 v11, v11 offset:1024
	s_waitcnt lgkmcnt(0)
	v_cmp_lt_i32_e32 vcc_lo, v11, v6
	v_cndmask_b32_e32 v8, v8, v12, vcc_lo
	v_cndmask_b32_e32 v9, v10, v9, vcc_lo
	s_or_b32 exec_lo, exec_lo, s2
	s_mov_b32 s2, exec_lo
	v_cmpx_lt_i32_e64 v8, v9
	s_cbranch_execz .LBB27_58
.LBB27_62:
	v_sub_nc_u32_e32 v10, v8, v9
	v_lshl_add_u32 v10, v9, 4, v10
	v_ashrrev_i32_e32 v10, 4, v10
	v_lshl_add_u32 v11, v10, 2, s0
	v_add_nc_u32_e32 v12, 1, v10
	ds_read_b32 v11, v11 offset:1024
	s_waitcnt lgkmcnt(0)
	v_cmp_lt_i32_e32 vcc_lo, v11, v6
	v_cndmask_b32_e32 v8, v8, v12, vcc_lo
	v_cndmask_b32_e32 v9, v10, v9, vcc_lo
	s_or_b32 exec_lo, exec_lo, s2
	s_mov_b32 s2, exec_lo
	v_cmpx_lt_i32_e64 v8, v9
	s_cbranch_execz .LBB27_66
.LBB27_63:
	s_mov_b32 s3, 0
.LBB27_64:                              ; =>This Inner Loop Header: Depth=1
	v_sub_nc_u32_e32 v10, v8, v9
	v_lshl_add_u32 v10, v9, 1, v10
	v_ashrrev_i32_e32 v10, 1, v10
	v_lshl_add_u32 v11, v10, 2, s0
	v_add_nc_u32_e32 v12, 1, v10
	ds_read_b32 v11, v11 offset:1024
	s_waitcnt lgkmcnt(0)
	v_cmp_lt_i32_e32 vcc_lo, v11, v6
	v_cndmask_b32_e32 v8, v8, v12, vcc_lo
	v_cndmask_b32_e32 v9, v10, v9, vcc_lo
	v_cmp_ge_i32_e32 vcc_lo, v8, v9
	s_or_b32 s3, vcc_lo, s3
	s_andn2_b32 exec_lo, exec_lo, s3
	s_cbranch_execnz .LBB27_64
; %bb.65:
	s_or_b32 exec_lo, exec_lo, s3
.LBB27_66:
	s_or_b32 exec_lo, exec_lo, s2
	v_sub_nc_u32_e32 v1, v1, v2
	v_sub_nc_u32_e32 v10, v7, v8
	s_mov_b32 s0, exec_lo
	v_add_nc_u32_e32 v9, v10, v1
	v_ashrrev_i32_e32 v1, 1, v9
	v_max_i32_e32 v1, v1, v10
	v_add3_u32 v8, v8, v1, 1
	v_min_i32_e32 v8, v8, v17
	v_sub_nc_u32_e32 v8, v8, v7
	v_mov_b32_e32 v7, 0
	v_cmpx_lt_i32_e32 0, v8
	s_cbranch_execz .LBB27_70
; %bb.67:
	v_mov_b32_e32 v7, 0
	s_mov_b32 s2, 0
.LBB27_68:                              ; =>This Inner Loop Header: Depth=1
	v_add_nc_u32_e32 v11, v7, v8
	v_lshrrev_b32_e32 v11, 1, v11
	v_lshl_add_u32 v12, v11, 2, v5
	v_add_nc_u32_e32 v13, 1, v11
	ds_read_b32 v12, v12 offset:1024
	s_waitcnt lgkmcnt(0)
	v_cmp_lt_i32_e32 vcc_lo, v6, v12
	v_cndmask_b32_e32 v7, v13, v7, vcc_lo
	v_cndmask_b32_e32 v8, v8, v11, vcc_lo
	v_cmp_ge_i32_e32 vcc_lo, v7, v8
	s_or_b32 s2, vcc_lo, s2
	s_andn2_b32 exec_lo, exec_lo, s2
	s_cbranch_execnz .LBB27_68
; %bb.69:
	s_or_b32 exec_lo, exec_lo, s2
.LBB27_70:
	s_or_b32 exec_lo, exec_lo, s0
	v_add_nc_u32_e32 v5, v7, v10
	s_waitcnt lgkmcnt(0)
	v_min_i32_e32 v6, v5, v1
	v_cmp_lt_i32_e32 vcc_lo, v1, v5
	v_sub_nc_u32_e32 v7, v9, v6
	v_add_nc_u32_e32 v6, 1, v6
	v_add_nc_u32_e32 v1, v7, v2
	v_cmp_eq_u32_e64 s0, v7, v6
	s_and_b32 s0, vcc_lo, s0
	v_cndmask_b32_e64 v5, 0, 1, s0
.LBB27_71:
	s_or_b32 exec_lo, exec_lo, s1
	v_add_nc_u32_e32 v2, v5, v3
	s_lshl_b32 s0, s37, 16
	v_lshlrev_b32_e32 v7, 2, v1
	v_or_b32_e32 v3, s0, v17
	v_sub_co_u32 v6, s0, v0, 1
	v_sub_nc_u32_e32 v8, v2, v1
	v_cndmask_b32_e64 v6, v6, 0xff, s0
	v_lshl_or_b32 v5, v1, 16, v8
	v_lshlrev_b32_e32 v9, 2, v6
	v_cndmask_b32_e64 v5, v5, v3, s0
	v_add_nc_u32_e32 v3, s37, v8
	ds_write_b32 v9, v5 offset:18432
	v_lshlrev_b32_e32 v6, 2, v3
	s_waitcnt lgkmcnt(0)
	s_barrier
	buffer_gl0_inv
	ds_read_b32 v5, v4
	ds_read_b32 v23, v7 offset:19456
	ds_read_b32 v24, v6 offset:19456
	s_waitcnt lgkmcnt(2)
	v_cmp_le_i32_sdwa s2, sext(v5), v1 src0_sel:WORD_1 src1_sel:DWORD
	v_cmp_le_i32_sdwa s3, v5, v8 src0_sel:WORD_0 src1_sel:DWORD
	s_waitcnt lgkmcnt(0)
	v_cmp_lt_i32_e32 vcc_lo, v24, v23
	v_mov_b32_e32 v25, v23
	v_cndmask_b32_e64 v8, 0, 1, s2
	s_or_b32 s1, s2, s3
	v_cndmask_b32_e64 v4, 0, 1, vcc_lo
	v_cndmask_b32_e64 v4, v4, v8, s1
	v_and_b32_e32 v4, 1, v4
	v_cmp_eq_u32_e32 vcc_lo, 1, v4
	s_xor_b32 s5, vcc_lo, -1
	s_and_saveexec_b32 s4, s5
; %bb.72:
	v_add_nc_u32_e32 v4, 0x4800, v7
	v_add_nc_u32_e32 v1, 1, v1
	ds_read_b32 v25, v4 offset:1028
; %bb.73:
	s_or_b32 exec_lo, exec_lo, s4
	s_xor_b32 s4, s2, -1
	v_cmp_lt_i32_e64 s2, v23, v24
	v_mov_b32_e32 v26, v24
	v_cndmask_b32_e64 v4, 0, 1, s2
	s_and_b32 s2, s3, s4
	v_cndmask_b32_e64 v7, 0, 1, s2
	v_cndmask_b32_e64 v4, v4, v7, s1
	v_and_b32_e32 v4, 1, v4
	v_cmp_eq_u32_e64 s1, 1, v4
	s_xor_b32 s3, s1, -1
	s_and_saveexec_b32 s2, s3
; %bb.74:
	v_add_nc_u32_e32 v4, 0x4800, v6
	v_add_nc_u32_e32 v3, 1, v3
	ds_read_b32 v26, v4 offset:1028
; %bb.75:
	s_or_b32 exec_lo, exec_lo, s2
	v_add_nc_u32_sdwa v8, v5, s37 dst_sel:DWORD dst_unused:UNUSED_PAD src0_sel:WORD_0 src1_sel:DWORD
	v_cmp_ge_i32_sdwa s4, v1, sext(v5) src0_sel:DWORD src1_sel:WORD_1
	s_waitcnt lgkmcnt(0)
	v_cmp_lt_i32_e64 s3, v26, v25
	v_mov_b32_e32 v27, v25
	v_cmp_ge_i32_e64 s2, v3, v8
	v_cndmask_b32_e64 v4, 0, 1, s4
	v_cndmask_b32_e64 v6, 0, 1, s3
	s_or_b32 s3, s4, s2
	v_cndmask_b32_e64 v4, v6, v4, s3
	v_and_b32_e32 v4, 1, v4
	v_cmp_eq_u32_e64 s17, 1, v4
	v_mov_b32_e32 v4, v1
	s_xor_b32 s5, s17, -1
	s_and_saveexec_b32 s3, s5
; %bb.76:
	v_lshlrev_b32_e32 v4, 2, v1
	ds_read_b32 v27, v4 offset:19460
	v_add_nc_u32_e32 v4, 1, v1
; %bb.77:
	s_or_b32 exec_lo, exec_lo, s3
	v_cmp_lt_i32_e64 s3, v25, v26
	s_xor_b32 s4, s4, -1
	v_mov_b32_e32 v28, v26
	v_mov_b32_e32 v6, v3
	s_or_b32 s2, s2, s3
	s_and_b32 s2, s4, s2
	s_xor_b32 s4, s2, -1
	s_and_saveexec_b32 s3, s4
; %bb.78:
	v_lshlrev_b32_e32 v6, 2, v3
	ds_read_b32 v28, v6 offset:19460
	v_add_nc_u32_e32 v6, 1, v3
; %bb.79:
	s_or_b32 exec_lo, exec_lo, s3
	v_cmp_ge_i32_sdwa s5, v4, sext(v5) src0_sel:DWORD src1_sel:WORD_1
	s_waitcnt lgkmcnt(0)
	v_cmp_lt_i32_e64 s4, v28, v27
	v_cmp_ge_i32_e64 s3, v6, v8
	v_mov_b32_e32 v29, v27
	v_cndmask_b32_e64 v7, 0, 1, s5
	v_cndmask_b32_e64 v9, 0, 1, s4
	s_or_b32 s4, s5, s3
	v_cndmask_b32_e64 v7, v9, v7, s4
	v_and_b32_e32 v7, 1, v7
	v_cmp_eq_u32_e64 s18, 1, v7
	v_mov_b32_e32 v7, v4
	s_xor_b32 s6, s18, -1
	s_and_saveexec_b32 s4, s6
; %bb.80:
	v_lshlrev_b32_e32 v7, 2, v4
	ds_read_b32 v29, v7 offset:19460
	v_add_nc_u32_e32 v7, 1, v4
; %bb.81:
	s_or_b32 exec_lo, exec_lo, s4
	v_cmp_lt_i32_e64 s4, v27, v28
	s_xor_b32 s5, s5, -1
	v_mov_b32_e32 v30, v28
	v_mov_b32_e32 v9, v6
	s_or_b32 s3, s3, s4
	s_and_b32 s3, s5, s3
	s_xor_b32 s5, s3, -1
	s_and_saveexec_b32 s4, s5
; %bb.82:
	v_lshlrev_b32_e32 v9, 2, v6
	ds_read_b32 v30, v9 offset:19460
	v_add_nc_u32_e32 v9, 1, v6
; %bb.83:
	s_or_b32 exec_lo, exec_lo, s4
	v_cmp_ge_i32_sdwa s6, v7, sext(v5) src0_sel:DWORD src1_sel:WORD_1
	s_waitcnt lgkmcnt(0)
	v_cmp_lt_i32_e64 s5, v30, v29
	v_cmp_ge_i32_e64 s4, v9, v8
	v_mov_b32_e32 v31, v29
	;; [unrolled: 34-line block ×4, first 2 shown]
	v_cndmask_b32_e64 v14, 0, 1, s8
	v_cndmask_b32_e64 v15, 0, 1, s7
	s_or_b32 s7, s8, s6
	v_cndmask_b32_e64 v14, v15, v14, s7
	v_and_b32_e32 v14, 1, v14
	v_cmp_eq_u32_e64 s21, 1, v14
	v_mov_b32_e32 v14, v12
	s_xor_b32 s9, s21, -1
	s_and_saveexec_b32 s7, s9
; %bb.92:
	v_lshlrev_b32_e32 v14, 2, v12
	ds_read_b32 v35, v14 offset:19460
	v_add_nc_u32_e32 v14, 1, v12
; %bb.93:
	s_or_b32 exec_lo, exec_lo, s7
	v_cmp_lt_i32_e64 s7, v33, v34
	s_xor_b32 s8, s8, -1
	v_mov_b32_e32 v36, v34
	v_mov_b32_e32 v15, v13
	s_or_b32 s6, s6, s7
	s_and_b32 s6, s8, s6
	s_xor_b32 s8, s6, -1
	s_and_saveexec_b32 s7, s8
; %bb.94:
	v_lshlrev_b32_e32 v15, 2, v13
	ds_read_b32 v36, v15 offset:19460
	v_add_nc_u32_e32 v15, 1, v13
; %bb.95:
	s_or_b32 exec_lo, exec_lo, s7
	v_cmp_ge_i32_sdwa s9, v14, sext(v5) src0_sel:DWORD src1_sel:WORD_1
	s_waitcnt lgkmcnt(0)
	v_cmp_lt_i32_e64 s8, v36, v35
	v_cmp_ge_i32_e64 s7, v15, v8
	v_cndmask_b32_e64 v16, 0, 1, s9
	v_cndmask_b32_e64 v37, 0, 1, s8
	s_or_b32 s8, s9, s7
	v_cndmask_b32_e64 v16, v37, v16, s8
	v_mov_b32_e32 v37, v35
	v_and_b32_e32 v16, 1, v16
	v_cmp_eq_u32_e64 s22, 1, v16
	v_mov_b32_e32 v16, v14
	s_xor_b32 s10, s22, -1
	s_and_saveexec_b32 s8, s10
; %bb.96:
	v_lshlrev_b32_e32 v16, 2, v14
	ds_read_b32 v37, v16 offset:19460
	v_add_nc_u32_e32 v16, 1, v14
; %bb.97:
	s_or_b32 exec_lo, exec_lo, s8
	v_cmp_lt_i32_e64 s8, v35, v36
	s_xor_b32 s9, s9, -1
	v_mov_b32_e32 v38, v36
	v_mov_b32_e32 v55, v15
	s_or_b32 s7, s7, s8
	s_and_b32 s7, s9, s7
	s_xor_b32 s9, s7, -1
	s_and_saveexec_b32 s8, s9
; %bb.98:
	v_lshlrev_b32_e32 v38, 2, v15
	v_add_nc_u32_e32 v55, 1, v15
	ds_read_b32 v38, v38 offset:19460
; %bb.99:
	s_or_b32 exec_lo, exec_lo, s8
	v_cmp_ge_i32_sdwa s10, v16, sext(v5) src0_sel:DWORD src1_sel:WORD_1
	s_waitcnt lgkmcnt(0)
	v_cmp_lt_i32_e64 s9, v38, v37
	v_cmp_ge_i32_e64 s8, v55, v8
	v_mov_b32_e32 v56, v16
	v_cndmask_b32_e64 v39, 0, 1, s10
	v_cndmask_b32_e64 v40, 0, 1, s9
	s_or_b32 s9, s10, s8
	v_cndmask_b32_e64 v39, v40, v39, s9
	v_and_b32_e32 v39, 1, v39
	v_cmp_eq_u32_e64 s23, 1, v39
	v_mov_b32_e32 v39, v37
	s_xor_b32 s11, s23, -1
	s_and_saveexec_b32 s9, s11
; %bb.100:
	v_lshlrev_b32_e32 v39, 2, v16
	v_add_nc_u32_e32 v56, 1, v16
	ds_read_b32 v39, v39 offset:19460
; %bb.101:
	s_or_b32 exec_lo, exec_lo, s9
	v_cmp_lt_i32_e64 s9, v37, v38
	s_xor_b32 s10, s10, -1
	v_mov_b32_e32 v40, v38
	v_mov_b32_e32 v57, v55
	s_or_b32 s8, s8, s9
	s_and_b32 s8, s10, s8
	s_xor_b32 s10, s8, -1
	s_and_saveexec_b32 s9, s10
; %bb.102:
	v_lshlrev_b32_e32 v40, 2, v55
	v_add_nc_u32_e32 v57, 1, v55
	ds_read_b32 v40, v40 offset:19460
; %bb.103:
	s_or_b32 exec_lo, exec_lo, s9
	v_cmp_ge_i32_sdwa s11, v56, sext(v5) src0_sel:DWORD src1_sel:WORD_1
	s_waitcnt lgkmcnt(0)
	v_cmp_lt_i32_e64 s10, v40, v39
	v_cmp_ge_i32_e64 s9, v57, v8
	v_mov_b32_e32 v58, v56
	v_cndmask_b32_e64 v41, 0, 1, s11
	v_cndmask_b32_e64 v42, 0, 1, s10
	s_or_b32 s10, s11, s9
	v_cndmask_b32_e64 v41, v42, v41, s10
	v_and_b32_e32 v41, 1, v41
	v_cmp_eq_u32_e64 s24, 1, v41
	v_mov_b32_e32 v41, v39
	s_xor_b32 s12, s24, -1
	s_and_saveexec_b32 s10, s12
; %bb.104:
	v_lshlrev_b32_e32 v41, 2, v56
	v_add_nc_u32_e32 v58, 1, v56
	ds_read_b32 v41, v41 offset:19460
	;; [unrolled: 34-line block ×8, first 2 shown]
; %bb.129:
	s_or_b32 exec_lo, exec_lo, s16
	v_cmp_lt_i32_e64 s16, v51, v52
	s_xor_b32 s31, s31, -1
	v_mov_b32_e32 v54, v52
	v_mov_b32_e32 v71, v69
	s_or_b32 s15, s15, s16
	s_and_b32 s15, s31, s15
	s_xor_b32 s31, s15, -1
	s_and_saveexec_b32 s16, s31
; %bb.130:
	v_lshlrev_b32_e32 v54, 2, v69
	v_add_nc_u32_e32 v71, 1, v69
	ds_read_b32 v54, v54 offset:19460
; %bb.131:
	s_or_b32 exec_lo, exec_lo, s16
	v_cmp_ge_i32_sdwa s33, v70, sext(v5) src0_sel:DWORD src1_sel:WORD_1
	s_waitcnt lgkmcnt(0)
	v_cmp_lt_i32_e64 s31, v54, v53
	v_cmp_ge_i32_e64 s16, v71, v8
	v_cmp_lt_i32_sdwa s34, v70, sext(v5) src0_sel:DWORD src1_sel:WORD_1
	v_add_nc_u32_sdwa v5, v8, sext(v5) dst_sel:DWORD dst_unused:UNUSED_PAD src0_sel:DWORD src1_sel:WORD_1
	v_cndmask_b32_e64 v72, 0, 1, s33
	v_cndmask_b32_e64 v73, 0, 1, s31
	s_or_b32 s31, s33, s16
	v_add_nc_u32_e32 v8, v69, v68
	v_add_nc_u32_e32 v70, v71, v70
	s_xor_b32 s50, s28, s13
	v_cndmask_b32_e64 v72, v73, v72, s31
	v_cmp_lt_i32_e64 s31, v53, v54
	v_add_nc_u32_e32 v4, v6, v4
	s_xor_b32 s52, s26, s11
	v_add_nc_u32_e32 v1, v3, v1
	v_and_b32_e32 v71, 1, v72
	s_or_b32 s16, s16, s31
	v_cmp_lt_i32_e64 s36, v4, v5
	s_and_b32 s16, s34, s16
	v_cmp_lt_i32_e64 s34, v8, v5
	v_add_nc_u32_e32 v8, v63, v62
	v_cmp_eq_u32_e64 s33, 1, v71
	v_add_nc_u32_e32 v2, s37, v2
	s_xor_b32 s57, s19, s4
	s_xor_b32 s19, s18, s3
	v_cmp_lt_i32_e64 s28, v8, v5
	v_add_nc_u32_e32 v8, v59, v58
	s_xor_b32 s47, s33, s16
	v_add_nc_u32_e32 v7, v9, v7
	v_cmp_lt_i32_e64 s18, v1, v5
	s_and_b32 s36, s36, s19
	v_cmp_lt_i32_e64 s26, v8, v5
	v_add_nc_u32_e32 v8, v55, v16
	v_cmp_lt_i32_e64 s19, v2, v5
	s_xor_b32 s17, s17, s2
	s_xor_b32 s46, vcc_lo, s1
	v_add_nc_u32_e32 v14, v15, v14
	v_cmp_lt_i32_e64 s33, v8, v5
	v_add_nc_u32_e32 v8, v11, v10
	v_add_nc_u32_e32 v12, v13, v12
	s_xor_b32 s55, s21, s6
	s_xor_b32 s56, s20, s5
	v_cmp_lt_i32_e64 s20, v7, v5
	v_cmp_lt_i32_e64 s21, v8, v5
	s_and_b32 s45, s18, s17
	s_and_b32 s46, s19, s46
	v_add_nc_u32_e32 v66, v67, v66
	v_add_nc_u32_e32 v64, v65, v64
	;; [unrolled: 1-line block ×4, first 2 shown]
	v_cndmask_b32_e64 v1, 0, 4, s36
	v_cndmask_b32_e64 v2, 0, 2, s45
	;; [unrolled: 1-line block ×3, first 2 shown]
	v_cmp_lt_i32_e64 s35, v14, v5
	s_xor_b32 s54, s22, s7
	v_cmp_lt_i32_e64 s22, v12, v5
	s_and_b32 s21, s21, s56
	s_and_b32 s20, s20, s57
	v_cmp_lt_i32_e64 s31, v70, v5
	s_xor_b32 s48, s30, s15
	v_cmp_lt_i32_e64 s30, v66, v5
	s_xor_b32 s49, s29, s14
	v_cmp_lt_i32_e64 s29, v64, v5
	s_xor_b32 s51, s27, s12
	v_cmp_lt_i32_e64 s27, v60, v5
	s_xor_b32 s53, s25, s10
	v_cmp_lt_i32_e64 s25, v56, v5
	v_cndmask_b32_e64 v4, 0, 16, s21
	v_cndmask_b32_e64 v5, 0, 8, s20
	v_or3_b32 v1, v2, v3, v1
	s_and_b32 s17, s35, s54
	s_and_b32 s19, s22, s55
	v_cndmask_b32_e64 v2, 0, 64, s17
	v_cndmask_b32_e64 v3, 0, 32, s19
	v_or3_b32 v1, v1, v5, v4
	s_xor_b32 s17, s23, s8
	s_xor_b32 s18, s24, s9
	s_and_b32 s17, s33, s17
	v_mov_b32_e32 v10, 0
	v_cndmask_b32_e64 v4, 0, 0x80, s17
	v_or3_b32 v60, v1, v3, v2
	s_and_b32 s17, s26, s53
	v_cndmask_b32_e64 v1, 0, 0x200, s17
	s_and_b32 s17, s25, s18
	v_or_b32_e32 v59, v4, v60
	v_cndmask_b32_e64 v2, 0, 0x100, s17
	s_and_b32 s17, s28, s51
	s_barrier
	v_cndmask_b32_e64 v3, 0, 0x800, s17
	s_and_b32 s17, s27, s52
	v_or3_b32 v58, v2, v1, v59
	v_cndmask_b32_e64 v4, 0, 0x400, s17
	s_and_b32 s17, s30, s49
	buffer_gl0_inv
	v_cndmask_b32_e64 v1, 0, 0x2000, s17
	s_and_b32 s17, s29, s50
	v_or3_b32 v57, v4, v3, v58
	v_cndmask_b32_e64 v2, 0, 0x1000, s17
	s_and_b32 s17, s31, s47
	v_cndmask_b32_e64 v3, 0, 0x8000, s17
	s_and_b32 s17, s34, s48
	v_or3_b32 v56, v2, v1, v57
	v_cndmask_b32_e64 v4, 0, 0x4000, s17
	s_cmp_lg_u32 s44, 0
	v_or3_b32 v55, v4, v3, v56
	v_bcnt_u32_b32 v9, v55, 0
	s_cbranch_scc0 .LBB27_189
; %bb.132:
	v_mbcnt_lo_u32_b32 v61, -1, 0
	v_mov_b32_e32 v1, v9
	v_mov_b32_dpp v7, v9 row_shr:1 row_mask:0xf bank_mask:0xf
	v_mov_b32_dpp v6, v10 row_shr:1 row_mask:0xf bank_mask:0xf
	v_mov_b32_e32 v4, v9
	v_and_b32_e32 v5, 15, v61
	v_mov_b32_e32 v3, v10
	v_mov_b32_e32 v2, v10
	s_mov_b32 s17, exec_lo
	v_cmpx_ne_u32_e32 0, v5
; %bb.133:
	v_add_co_u32 v4, s18, v7, v9
	v_add_co_ci_u32_e64 v1, null, 0, 0, s18
	v_add_co_u32 v2, vcc_lo, 0, v4
	v_add_co_ci_u32_e64 v3, null, v6, v1, vcc_lo
	v_mov_b32_e32 v1, v2
	v_mov_b32_e32 v2, v3
; %bb.134:
	s_or_b32 exec_lo, exec_lo, s17
	v_mov_b32_dpp v7, v4 row_shr:2 row_mask:0xf bank_mask:0xf
	v_mov_b32_dpp v6, v3 row_shr:2 row_mask:0xf bank_mask:0xf
	s_mov_b32 s17, exec_lo
	v_cmpx_lt_u32_e32 1, v5
; %bb.135:
	v_add_co_u32 v4, vcc_lo, v1, v7
	v_add_co_ci_u32_e64 v1, null, 0, v2, vcc_lo
	v_add_co_u32 v2, vcc_lo, 0, v4
	v_add_co_ci_u32_e64 v3, null, v6, v1, vcc_lo
	v_mov_b32_e32 v1, v2
	v_mov_b32_e32 v2, v3
; %bb.136:
	s_or_b32 exec_lo, exec_lo, s17
	v_mov_b32_dpp v7, v4 row_shr:4 row_mask:0xf bank_mask:0xf
	v_mov_b32_dpp v6, v3 row_shr:4 row_mask:0xf bank_mask:0xf
	s_mov_b32 s17, exec_lo
	v_cmpx_lt_u32_e32 3, v5
; %bb.137:
	v_add_co_u32 v4, vcc_lo, v1, v7
	v_add_co_ci_u32_e64 v1, null, 0, v2, vcc_lo
	;; [unrolled: 13-line block ×3, first 2 shown]
	v_add_co_u32 v1, vcc_lo, 0, v4
	v_add_co_ci_u32_e64 v2, null, v6, v2, vcc_lo
	v_mov_b32_e32 v3, v2
; %bb.140:
	s_or_b32 exec_lo, exec_lo, s17
	ds_swizzle_b32 v5, v4 offset:swizzle(BROADCAST,32,15)
	ds_swizzle_b32 v3, v3 offset:swizzle(BROADCAST,32,15)
	v_and_b32_e32 v6, 16, v61
	s_mov_b32 s17, exec_lo
	v_cmpx_ne_u32_e32 0, v6
	s_cbranch_execz .LBB27_142
; %bb.141:
	s_waitcnt lgkmcnt(1)
	v_add_co_u32 v4, vcc_lo, v1, v5
	v_add_co_ci_u32_e64 v2, null, 0, v2, vcc_lo
	v_add_co_u32 v1, vcc_lo, 0, v4
	s_waitcnt lgkmcnt(0)
	v_add_co_ci_u32_e64 v2, null, v3, v2, vcc_lo
.LBB27_142:
	s_or_b32 exec_lo, exec_lo, s17
	s_waitcnt lgkmcnt(0)
	v_or_b32_e32 v3, 31, v0
	v_lshrrev_b32_e32 v5, 5, v0
	v_cmp_eq_u32_e32 vcc_lo, v0, v3
	v_lshlrev_b32_e32 v3, 3, v5
	s_and_saveexec_b32 s17, vcc_lo
; %bb.143:
	ds_write_b64 v3, v[1:2] offset:18432
; %bb.144:
	s_or_b32 exec_lo, exec_lo, s17
	s_mov_b32 s17, exec_lo
	s_waitcnt lgkmcnt(0)
	s_barrier
	buffer_gl0_inv
	v_cmpx_gt_u32_e32 8, v0
	s_cbranch_execz .LBB27_152
; %bb.145:
	v_lshlrev_b32_e32 v6, 3, v0
	v_and_b32_e32 v5, 7, v61
	s_mov_b32 s18, exec_lo
	ds_read_b64 v[1:2], v6 offset:18432
	s_waitcnt lgkmcnt(0)
	v_mov_b32_dpp v11, v1 row_shr:1 row_mask:0xf bank_mask:0xf
	v_mov_b32_dpp v8, v2 row_shr:1 row_mask:0xf bank_mask:0xf
	v_mov_b32_e32 v7, v1
	v_cmpx_ne_u32_e32 0, v5
; %bb.146:
	v_add_co_u32 v7, vcc_lo, v1, v11
	v_add_co_ci_u32_e64 v2, null, 0, v2, vcc_lo
	v_add_co_u32 v1, vcc_lo, 0, v7
	v_add_co_ci_u32_e64 v2, null, v8, v2, vcc_lo
; %bb.147:
	s_or_b32 exec_lo, exec_lo, s18
	v_mov_b32_dpp v11, v7 row_shr:2 row_mask:0xf bank_mask:0xf
	v_mov_b32_dpp v8, v2 row_shr:2 row_mask:0xf bank_mask:0xf
	s_mov_b32 s18, exec_lo
	v_cmpx_lt_u32_e32 1, v5
; %bb.148:
	v_add_co_u32 v7, vcc_lo, v1, v11
	v_add_co_ci_u32_e64 v2, null, 0, v2, vcc_lo
	v_add_co_u32 v1, vcc_lo, 0, v7
	v_add_co_ci_u32_e64 v2, null, v8, v2, vcc_lo
; %bb.149:
	s_or_b32 exec_lo, exec_lo, s18
	v_or_b32_e32 v6, 0x4800, v6
	v_mov_b32_dpp v8, v7 row_shr:4 row_mask:0xf bank_mask:0xf
	v_mov_b32_dpp v7, v2 row_shr:4 row_mask:0xf bank_mask:0xf
	s_mov_b32 s18, exec_lo
	v_cmpx_lt_u32_e32 3, v5
; %bb.150:
	v_add_co_u32 v1, vcc_lo, v1, v8
	v_add_co_ci_u32_e64 v2, null, 0, v2, vcc_lo
	v_add_co_u32 v1, vcc_lo, v1, 0
	v_add_co_ci_u32_e64 v2, null, v2, v7, vcc_lo
; %bb.151:
	s_or_b32 exec_lo, exec_lo, s18
	ds_write_b64 v6, v[1:2]
.LBB27_152:
	s_or_b32 exec_lo, exec_lo, s17
	s_mov_b32 s18, exec_lo
	v_cmp_gt_u32_e32 vcc_lo, 32, v0
	s_waitcnt lgkmcnt(0)
	s_barrier
	buffer_gl0_inv
                                        ; implicit-def: $vgpr11_vgpr12
	v_cmpx_lt_u32_e32 31, v0
	s_cbranch_execz .LBB27_154
; %bb.153:
	ds_read_b64 v[11:12], v3 offset:18424
	s_waitcnt lgkmcnt(0)
	v_add_nc_u32_e32 v4, v4, v11
.LBB27_154:
	s_or_b32 exec_lo, exec_lo, s18
	v_sub_co_u32 v1, s17, v61, 1
	v_cmp_gt_i32_e64 s18, 0, v1
	v_cndmask_b32_e64 v1, v1, v61, s18
	v_lshlrev_b32_e32 v1, 2, v1
	ds_bpermute_b32 v62, v1, v4
	s_and_saveexec_b32 s18, vcc_lo
	s_cbranch_execz .LBB27_194
; %bb.155:
	v_mov_b32_e32 v4, 0
	ds_read_b64 v[1:2], v4 offset:18488
	s_and_saveexec_b32 s22, s17
	s_cbranch_execz .LBB27_157
; %bb.156:
	s_add_i32 s24, s44, 32
	s_mov_b32 s25, 0
	v_mov_b32_e32 v3, 1
	s_lshl_b64 s[24:25], s[24:25], 4
	s_add_u32 s24, s40, s24
	s_addc_u32 s25, s41, s25
	v_mov_b32_e32 v5, s24
	v_mov_b32_e32 v6, s25
	s_waitcnt lgkmcnt(0)
	;;#ASMSTART
	global_store_dwordx4 v[5:6], v[1:4] off	
s_waitcnt vmcnt(0)
	;;#ASMEND
.LBB27_157:
	s_or_b32 exec_lo, exec_lo, s22
	v_xad_u32 v13, v61, -1, s44
	s_mov_b32 s23, 0
	v_add_nc_u32_e32 v3, 32, v13
	v_lshlrev_b64 v[5:6], 4, v[3:4]
	v_add_co_u32 v14, vcc_lo, s40, v5
	v_add_co_ci_u32_e64 v15, null, s41, v6, vcc_lo
	;;#ASMSTART
	global_load_dwordx4 v[5:8], v[14:15] off glc dlc	
s_waitcnt vmcnt(0)
	;;#ASMEND
	v_cmp_eq_u16_sdwa s24, v7, v4 src0_sel:BYTE_0 src1_sel:DWORD
	s_and_saveexec_b32 s22, s24
	s_cbranch_execz .LBB27_161
; %bb.158:
	v_mov_b32_e32 v3, 0
.LBB27_159:                             ; =>This Inner Loop Header: Depth=1
	;;#ASMSTART
	global_load_dwordx4 v[5:8], v[14:15] off glc dlc	
s_waitcnt vmcnt(0)
	;;#ASMEND
	v_cmp_ne_u16_sdwa s24, v7, v3 src0_sel:BYTE_0 src1_sel:DWORD
	s_or_b32 s23, s24, s23
	s_andn2_b32 exec_lo, exec_lo, s23
	s_cbranch_execnz .LBB27_159
; %bb.160:
	s_or_b32 exec_lo, exec_lo, s23
.LBB27_161:
	s_or_b32 exec_lo, exec_lo, s22
	v_cmp_ne_u32_e32 vcc_lo, 31, v61
	v_mov_b32_e32 v4, 2
	v_lshlrev_b32_e64 v64, v61, -1
	v_add_co_ci_u32_e64 v3, null, 0, v61, vcc_lo
	v_cmp_eq_u16_sdwa s22, v7, v4 src0_sel:BYTE_0 src1_sel:DWORD
	v_mov_b32_e32 v4, v5
	v_lshlrev_b32_e32 v63, 2, v3
	v_and_or_b32 v3, s22, v64, 0x80000000
	s_mov_b32 s22, exec_lo
	ds_bpermute_b32 v14, v63, v5
	ds_bpermute_b32 v8, v63, v6
	v_ffbl_b32_e32 v3, v3
	v_cmpx_lt_u32_e64 v61, v3
	s_cbranch_execz .LBB27_163
; %bb.162:
	s_waitcnt lgkmcnt(1)
	v_add_co_u32 v4, vcc_lo, v5, v14
	v_add_co_ci_u32_e64 v6, null, 0, v6, vcc_lo
	v_add_co_u32 v5, vcc_lo, 0, v4
	s_waitcnt lgkmcnt(0)
	v_add_co_ci_u32_e64 v6, null, v8, v6, vcc_lo
.LBB27_163:
	s_or_b32 exec_lo, exec_lo, s22
	v_cmp_gt_u32_e32 vcc_lo, 30, v61
	v_add_nc_u32_e32 v66, 2, v61
	s_mov_b32 s22, exec_lo
	s_waitcnt lgkmcnt(0)
	v_cndmask_b32_e64 v8, 0, 2, vcc_lo
	v_add_lshl_u32 v65, v8, v61, 2
	ds_bpermute_b32 v14, v65, v4
	ds_bpermute_b32 v8, v65, v6
	v_cmpx_le_u32_e64 v66, v3
	s_cbranch_execz .LBB27_165
; %bb.164:
	s_waitcnt lgkmcnt(1)
	v_add_co_u32 v4, vcc_lo, v5, v14
	v_add_co_ci_u32_e64 v6, null, 0, v6, vcc_lo
	v_add_co_u32 v5, vcc_lo, 0, v4
	s_waitcnt lgkmcnt(0)
	v_add_co_ci_u32_e64 v6, null, v8, v6, vcc_lo
.LBB27_165:
	s_or_b32 exec_lo, exec_lo, s22
	v_cmp_gt_u32_e32 vcc_lo, 28, v61
	v_add_nc_u32_e32 v68, 4, v61
	s_mov_b32 s22, exec_lo
	s_waitcnt lgkmcnt(0)
	v_cndmask_b32_e64 v8, 0, 4, vcc_lo
	v_add_lshl_u32 v67, v8, v61, 2
	ds_bpermute_b32 v14, v67, v4
	ds_bpermute_b32 v8, v67, v6
	v_cmpx_le_u32_e64 v68, v3
	;; [unrolled: 19-line block ×3, first 2 shown]
	s_cbranch_execz .LBB27_169
; %bb.168:
	s_waitcnt lgkmcnt(1)
	v_add_co_u32 v4, vcc_lo, v5, v14
	v_add_co_ci_u32_e64 v6, null, 0, v6, vcc_lo
	v_add_co_u32 v5, vcc_lo, 0, v4
	s_waitcnt lgkmcnt(0)
	v_add_co_ci_u32_e64 v6, null, v8, v6, vcc_lo
.LBB27_169:
	s_or_b32 exec_lo, exec_lo, s22
	v_lshl_or_b32 v71, v61, 2, 64
	v_add_nc_u32_e32 v72, 16, v61
	s_mov_b32 s22, exec_lo
	s_waitcnt lgkmcnt(0)
	ds_bpermute_b32 v8, v71, v4
	ds_bpermute_b32 v4, v71, v6
	v_cmpx_le_u32_e64 v72, v3
	s_cbranch_execz .LBB27_171
; %bb.170:
	s_waitcnt lgkmcnt(1)
	v_add_co_u32 v3, vcc_lo, v5, v8
	v_add_co_ci_u32_e64 v6, null, 0, v6, vcc_lo
	v_add_co_u32 v5, vcc_lo, v3, 0
	s_waitcnt lgkmcnt(0)
	v_add_co_ci_u32_e64 v6, null, v6, v4, vcc_lo
.LBB27_171:
	s_or_b32 exec_lo, exec_lo, s22
	v_mov_b32_e32 v14, 0
	v_mov_b32_e32 v73, 2
	s_branch .LBB27_174
.LBB27_172:                             ;   in Loop: Header=BB27_174 Depth=1
	s_or_b32 exec_lo, exec_lo, s22
	v_add_co_u32 v5, vcc_lo, v5, v3
	v_subrev_nc_u32_e32 v13, 32, v13
	v_add_co_ci_u32_e64 v6, null, v6, v4, vcc_lo
	s_mov_b32 s22, 0
.LBB27_173:                             ;   in Loop: Header=BB27_174 Depth=1
	s_and_b32 vcc_lo, exec_lo, s22
	s_cbranch_vccnz .LBB27_190
.LBB27_174:                             ; =>This Loop Header: Depth=1
                                        ;     Child Loop BB27_177 Depth 2
	v_cmp_ne_u16_sdwa s22, v7, v73 src0_sel:BYTE_0 src1_sel:DWORD
	s_waitcnt lgkmcnt(0)
	v_mov_b32_e32 v3, v5
	v_mov_b32_e32 v4, v6
                                        ; implicit-def: $vgpr5_vgpr6
	s_cmp_lg_u32 s22, exec_lo
	s_mov_b32 s22, -1
	s_cbranch_scc1 .LBB27_173
; %bb.175:                              ;   in Loop: Header=BB27_174 Depth=1
	v_lshlrev_b64 v[5:6], 4, v[13:14]
	v_add_co_u32 v15, vcc_lo, s40, v5
	v_add_co_ci_u32_e64 v16, null, s41, v6, vcc_lo
	;;#ASMSTART
	global_load_dwordx4 v[5:8], v[15:16] off glc dlc	
s_waitcnt vmcnt(0)
	;;#ASMEND
	v_cmp_eq_u16_sdwa s23, v7, v14 src0_sel:BYTE_0 src1_sel:DWORD
	s_and_saveexec_b32 s22, s23
	s_cbranch_execz .LBB27_179
; %bb.176:                              ;   in Loop: Header=BB27_174 Depth=1
	s_mov_b32 s23, 0
.LBB27_177:                             ;   Parent Loop BB27_174 Depth=1
                                        ; =>  This Inner Loop Header: Depth=2
	;;#ASMSTART
	global_load_dwordx4 v[5:8], v[15:16] off glc dlc	
s_waitcnt vmcnt(0)
	;;#ASMEND
	v_cmp_ne_u16_sdwa s24, v7, v14 src0_sel:BYTE_0 src1_sel:DWORD
	s_or_b32 s23, s24, s23
	s_andn2_b32 exec_lo, exec_lo, s23
	s_cbranch_execnz .LBB27_177
; %bb.178:                              ;   in Loop: Header=BB27_174 Depth=1
	s_or_b32 exec_lo, exec_lo, s23
.LBB27_179:                             ;   in Loop: Header=BB27_174 Depth=1
	s_or_b32 exec_lo, exec_lo, s22
	ds_bpermute_b32 v74, v63, v5
	ds_bpermute_b32 v16, v63, v6
	v_cmp_eq_u16_sdwa s22, v7, v73 src0_sel:BYTE_0 src1_sel:DWORD
	v_mov_b32_e32 v15, v5
	v_and_or_b32 v8, s22, v64, 0x80000000
	s_mov_b32 s22, exec_lo
	v_ffbl_b32_e32 v8, v8
	v_cmpx_lt_u32_e64 v61, v8
	s_cbranch_execz .LBB27_181
; %bb.180:                              ;   in Loop: Header=BB27_174 Depth=1
	s_waitcnt lgkmcnt(1)
	v_add_co_u32 v15, vcc_lo, v5, v74
	v_add_co_ci_u32_e64 v6, null, 0, v6, vcc_lo
	v_add_co_u32 v5, vcc_lo, 0, v15
	s_waitcnt lgkmcnt(0)
	v_add_co_ci_u32_e64 v6, null, v16, v6, vcc_lo
.LBB27_181:                             ;   in Loop: Header=BB27_174 Depth=1
	s_or_b32 exec_lo, exec_lo, s22
	s_waitcnt lgkmcnt(1)
	ds_bpermute_b32 v74, v65, v15
	s_waitcnt lgkmcnt(1)
	ds_bpermute_b32 v16, v65, v6
	s_mov_b32 s22, exec_lo
	v_cmpx_le_u32_e64 v66, v8
	s_cbranch_execz .LBB27_183
; %bb.182:                              ;   in Loop: Header=BB27_174 Depth=1
	s_waitcnt lgkmcnt(1)
	v_add_co_u32 v15, vcc_lo, v5, v74
	v_add_co_ci_u32_e64 v6, null, 0, v6, vcc_lo
	v_add_co_u32 v5, vcc_lo, 0, v15
	s_waitcnt lgkmcnt(0)
	v_add_co_ci_u32_e64 v6, null, v16, v6, vcc_lo
.LBB27_183:                             ;   in Loop: Header=BB27_174 Depth=1
	s_or_b32 exec_lo, exec_lo, s22
	s_waitcnt lgkmcnt(1)
	ds_bpermute_b32 v74, v67, v15
	s_waitcnt lgkmcnt(1)
	ds_bpermute_b32 v16, v67, v6
	s_mov_b32 s22, exec_lo
	v_cmpx_le_u32_e64 v68, v8
	;; [unrolled: 16-line block ×3, first 2 shown]
	s_cbranch_execz .LBB27_187
; %bb.186:                              ;   in Loop: Header=BB27_174 Depth=1
	s_waitcnt lgkmcnt(1)
	v_add_co_u32 v15, vcc_lo, v5, v74
	v_add_co_ci_u32_e64 v6, null, 0, v6, vcc_lo
	v_add_co_u32 v5, vcc_lo, 0, v15
	s_waitcnt lgkmcnt(0)
	v_add_co_ci_u32_e64 v6, null, v16, v6, vcc_lo
.LBB27_187:                             ;   in Loop: Header=BB27_174 Depth=1
	s_or_b32 exec_lo, exec_lo, s22
	s_waitcnt lgkmcnt(0)
	ds_bpermute_b32 v16, v71, v15
	ds_bpermute_b32 v15, v71, v6
	s_mov_b32 s22, exec_lo
	v_cmpx_le_u32_e64 v72, v8
	s_cbranch_execz .LBB27_172
; %bb.188:                              ;   in Loop: Header=BB27_174 Depth=1
	s_waitcnt lgkmcnt(1)
	v_add_co_u32 v5, vcc_lo, v5, v16
	v_add_co_ci_u32_e64 v6, null, 0, v6, vcc_lo
	v_add_co_u32 v5, vcc_lo, v5, 0
	s_waitcnt lgkmcnt(0)
	v_add_co_ci_u32_e64 v6, null, v6, v15, vcc_lo
	s_branch .LBB27_172
.LBB27_189:
                                        ; implicit-def: $vgpr1_vgpr2
                                        ; implicit-def: $vgpr5_vgpr6
	s_movk_i32 s17, 0x4840
	s_cbranch_execnz .LBB27_195
	s_branch .LBB27_218
.LBB27_190:
	s_and_saveexec_b32 s22, s17
	s_cbranch_execz .LBB27_192
; %bb.191:
	s_add_i32 s24, s44, 32
	s_mov_b32 s25, 0
	v_add_co_u32 v5, vcc_lo, v3, v1
	s_lshl_b64 s[24:25], s[24:25], 4
	v_mov_b32_e32 v8, 0
	s_add_u32 s24, s40, s24
	s_addc_u32 s25, s41, s25
	v_mov_b32_e32 v13, s24
	v_add_co_ci_u32_e64 v6, null, v4, v2, vcc_lo
	v_mov_b32_e32 v7, 2
	v_mov_b32_e32 v14, s25
	;;#ASMSTART
	global_store_dwordx4 v[13:14], v[5:8] off	
s_waitcnt vmcnt(0)
	;;#ASMEND
	ds_write_b128 v8, v[1:4] offset:18496
.LBB27_192:
	s_or_b32 exec_lo, exec_lo, s22
	s_and_b32 exec_lo, exec_lo, s0
; %bb.193:
	v_mov_b32_e32 v1, 0
	ds_write_b64 v1, v[3:4] offset:18488
.LBB27_194:
	s_or_b32 exec_lo, exec_lo, s18
	v_mov_b32_e32 v1, 0
	s_waitcnt lgkmcnt(0)
	s_barrier
	buffer_gl0_inv
	v_cndmask_b32_e64 v5, v62, v11, s17
	ds_read_b64 v[3:4], v1 offset:18488
	s_waitcnt lgkmcnt(0)
	s_barrier
	buffer_gl0_inv
	ds_read_b64 v[1:2], v1 offset:18504
	v_cndmask_b32_e64 v6, 0, v12, s17
	v_cndmask_b32_e64 v5, v5, 0, s0
	;; [unrolled: 1-line block ×3, first 2 shown]
	v_add_co_u32 v5, vcc_lo, v3, v5
	v_add_co_ci_u32_e64 v3, null, v4, v6, vcc_lo
	s_movk_i32 s17, 0x4840
	s_branch .LBB27_218
.LBB27_195:
	v_mbcnt_lo_u32_b32 v5, -1, 0
	v_mov_b32_e32 v3, 0
	s_waitcnt lgkmcnt(0)
	v_mov_b32_e32 v1, v9
	v_mov_b32_dpp v7, v9 row_shr:1 row_mask:0xf bank_mask:0xf
	v_mov_b32_e32 v2, v10
	v_and_b32_e32 v4, 15, v5
	v_mov_b32_dpp v6, v3 row_shr:1 row_mask:0xf bank_mask:0xf
	s_mov_b32 s17, exec_lo
	v_cmpx_ne_u32_e32 0, v4
; %bb.196:
	v_add_co_u32 v9, s18, v7, v9
	v_add_co_ci_u32_e64 v1, null, 0, 0, s18
	v_add_co_u32 v2, vcc_lo, 0, v9
	v_add_co_ci_u32_e64 v3, null, v6, v1, vcc_lo
	v_mov_b32_e32 v1, v2
	v_mov_b32_e32 v2, v3
; %bb.197:
	s_or_b32 exec_lo, exec_lo, s17
	v_mov_b32_dpp v7, v9 row_shr:2 row_mask:0xf bank_mask:0xf
	v_mov_b32_dpp v6, v3 row_shr:2 row_mask:0xf bank_mask:0xf
	s_mov_b32 s17, exec_lo
	v_cmpx_lt_u32_e32 1, v4
; %bb.198:
	v_add_co_u32 v9, vcc_lo, v1, v7
	v_add_co_ci_u32_e64 v1, null, 0, v2, vcc_lo
	v_add_co_u32 v2, vcc_lo, 0, v9
	v_add_co_ci_u32_e64 v3, null, v6, v1, vcc_lo
	v_mov_b32_e32 v1, v2
	v_mov_b32_e32 v2, v3
; %bb.199:
	s_or_b32 exec_lo, exec_lo, s17
	v_mov_b32_dpp v7, v9 row_shr:4 row_mask:0xf bank_mask:0xf
	v_mov_b32_dpp v6, v3 row_shr:4 row_mask:0xf bank_mask:0xf
	s_mov_b32 s17, exec_lo
	v_cmpx_lt_u32_e32 3, v4
; %bb.200:
	v_add_co_u32 v9, vcc_lo, v1, v7
	v_add_co_ci_u32_e64 v1, null, 0, v2, vcc_lo
	;; [unrolled: 13-line block ×3, first 2 shown]
	v_add_co_u32 v1, vcc_lo, 0, v9
	v_add_co_ci_u32_e64 v2, null, v6, v2, vcc_lo
	v_mov_b32_e32 v3, v2
; %bb.203:
	s_or_b32 exec_lo, exec_lo, s17
	ds_swizzle_b32 v4, v9 offset:swizzle(BROADCAST,32,15)
	ds_swizzle_b32 v3, v3 offset:swizzle(BROADCAST,32,15)
	v_and_b32_e32 v6, 16, v5
	s_mov_b32 s17, exec_lo
	v_cmpx_ne_u32_e32 0, v6
	s_cbranch_execz .LBB27_205
; %bb.204:
	s_waitcnt lgkmcnt(1)
	v_add_co_u32 v9, vcc_lo, v1, v4
	v_add_co_ci_u32_e64 v2, null, 0, v2, vcc_lo
	v_add_co_u32 v1, vcc_lo, 0, v9
	s_waitcnt lgkmcnt(0)
	v_add_co_ci_u32_e64 v2, null, v3, v2, vcc_lo
.LBB27_205:
	s_or_b32 exec_lo, exec_lo, s17
	s_waitcnt lgkmcnt(1)
	v_lshrrev_b32_e32 v4, 5, v0
	s_waitcnt lgkmcnt(0)
	v_or_b32_e32 v3, 31, v0
	s_mov_b32 s17, exec_lo
	v_lshlrev_b32_e32 v6, 3, v4
	v_cmpx_eq_u32_e64 v0, v3
; %bb.206:
	ds_write_b64 v6, v[1:2] offset:18432
; %bb.207:
	s_or_b32 exec_lo, exec_lo, s17
	s_mov_b32 s17, exec_lo
	s_waitcnt lgkmcnt(0)
	s_barrier
	buffer_gl0_inv
	v_cmpx_gt_u32_e32 8, v0
	s_cbranch_execz .LBB27_215
; %bb.208:
	v_lshlrev_b32_e32 v4, 3, v0
	v_and_b32_e32 v3, 7, v5
	s_mov_b32 s18, exec_lo
	ds_read_b64 v[1:2], v4 offset:18432
	s_waitcnt lgkmcnt(0)
	v_mov_b32_dpp v10, v1 row_shr:1 row_mask:0xf bank_mask:0xf
	v_mov_b32_dpp v8, v2 row_shr:1 row_mask:0xf bank_mask:0xf
	v_mov_b32_e32 v7, v1
	v_cmpx_ne_u32_e32 0, v3
; %bb.209:
	v_add_co_u32 v7, vcc_lo, v1, v10
	v_add_co_ci_u32_e64 v2, null, 0, v2, vcc_lo
	v_add_co_u32 v1, vcc_lo, 0, v7
	v_add_co_ci_u32_e64 v2, null, v8, v2, vcc_lo
; %bb.210:
	s_or_b32 exec_lo, exec_lo, s18
	v_mov_b32_dpp v10, v7 row_shr:2 row_mask:0xf bank_mask:0xf
	v_mov_b32_dpp v8, v2 row_shr:2 row_mask:0xf bank_mask:0xf
	s_mov_b32 s18, exec_lo
	v_cmpx_lt_u32_e32 1, v3
; %bb.211:
	v_add_co_u32 v7, vcc_lo, v1, v10
	v_add_co_ci_u32_e64 v2, null, 0, v2, vcc_lo
	v_add_co_u32 v1, vcc_lo, 0, v7
	v_add_co_ci_u32_e64 v2, null, v8, v2, vcc_lo
; %bb.212:
	s_or_b32 exec_lo, exec_lo, s18
	v_or_b32_e32 v4, 0x4800, v4
	v_mov_b32_dpp v8, v7 row_shr:4 row_mask:0xf bank_mask:0xf
	v_mov_b32_dpp v7, v2 row_shr:4 row_mask:0xf bank_mask:0xf
	s_mov_b32 s18, exec_lo
	v_cmpx_lt_u32_e32 3, v3
; %bb.213:
	v_add_co_u32 v1, vcc_lo, v1, v8
	v_add_co_ci_u32_e64 v2, null, 0, v2, vcc_lo
	v_add_co_u32 v1, vcc_lo, v1, 0
	v_add_co_ci_u32_e64 v2, null, v2, v7, vcc_lo
; %bb.214:
	s_or_b32 exec_lo, exec_lo, s18
	ds_write_b64 v4, v[1:2]
.LBB27_215:
	s_or_b32 exec_lo, exec_lo, s17
	v_mov_b32_e32 v1, 0
	v_mov_b32_e32 v2, 0
	s_mov_b32 s17, exec_lo
	v_mov_b32_e32 v3, 0
	v_mov_b32_e32 v4, 0
	s_waitcnt lgkmcnt(0)
	s_barrier
	buffer_gl0_inv
	v_cmpx_lt_u32_e32 31, v0
; %bb.216:
	ds_read_b64 v[3:4], v6 offset:18424
; %bb.217:
	s_or_b32 exec_lo, exec_lo, s17
	s_waitcnt lgkmcnt(0)
	v_sub_co_u32 v4, vcc_lo, v5, 1
	v_cmp_gt_i32_e64 s17, 0, v4
	v_cndmask_b32_e64 v4, v4, v5, s17
	v_add_nc_u32_e32 v5, v9, v3
	s_movk_i32 s17, 0x4838
	v_lshlrev_b32_e32 v4, 2, v4
	ds_bpermute_b32 v4, v4, v5
	s_waitcnt lgkmcnt(0)
	v_cndmask_b32_e32 v5, v4, v3, vcc_lo
.LBB27_218:
	v_mov_b32_e32 v3, s17
	s_waitcnt lgkmcnt(0)
	v_sub_nc_u32_e32 v5, v5, v1
	ds_read_b64 v[3:4], v3
	s_waitcnt lgkmcnt(0)
	s_barrier
	buffer_gl0_inv
	s_and_saveexec_b32 s17, s46
	s_cbranch_execnz .LBB27_264
; %bb.219:
	s_or_b32 exec_lo, exec_lo, s17
	s_and_saveexec_b32 s1, s45
	s_cbranch_execnz .LBB27_265
.LBB27_220:
	s_or_b32 exec_lo, exec_lo, s1
	s_and_saveexec_b32 s1, s36
	s_cbranch_execnz .LBB27_266
.LBB27_221:
	s_or_b32 exec_lo, exec_lo, s1
	s_and_saveexec_b32 s1, s20
	s_cbranch_execnz .LBB27_267
.LBB27_222:
	s_or_b32 exec_lo, exec_lo, s1
	s_and_saveexec_b32 s1, s21
	s_cbranch_execnz .LBB27_268
.LBB27_223:
	s_or_b32 exec_lo, exec_lo, s1
	s_and_saveexec_b32 s1, s19
	s_cbranch_execz .LBB27_225
.LBB27_224:
	v_cndmask_b32_e64 v6, v34, v33, s6
	v_lshlrev_b32_e32 v7, 2, v5
	v_add_nc_u32_e32 v5, 1, v5
	ds_write_b32 v7, v6 offset:19456
.LBB27_225:
	s_or_b32 exec_lo, exec_lo, s1
	v_and_b32_e32 v6, 64, v60
	s_mov_b32 s1, exec_lo
	v_cmpx_ne_u32_e32 0, v6
	s_cbranch_execz .LBB27_227
; %bb.226:
	v_cndmask_b32_e64 v6, v36, v35, s7
	v_lshlrev_b32_e32 v7, 2, v5
	v_add_nc_u32_e32 v5, 1, v5
	ds_write_b32 v7, v6 offset:19456
.LBB27_227:
	s_or_b32 exec_lo, exec_lo, s1
	v_and_b32_e32 v6, 0x80, v59
	s_mov_b32 s1, exec_lo
	v_cmpx_ne_u32_e32 0, v6
	s_cbranch_execz .LBB27_229
; %bb.228:
	v_cndmask_b32_e64 v6, v38, v37, s8
	v_lshlrev_b32_e32 v7, 2, v5
	v_add_nc_u32_e32 v5, 1, v5
	ds_write_b32 v7, v6 offset:19456
.LBB27_229:
	;; [unrolled: 11-line block ×9, first 2 shown]
	s_or_b32 exec_lo, exec_lo, s1
	v_and_b32_e32 v6, 0x8000, v55
	s_mov_b32 s1, exec_lo
	v_cmpx_ne_u32_e32 0, v6
; %bb.244:
	v_cndmask_b32_e64 v6, v54, v53, s16
	v_lshlrev_b32_e32 v5, 2, v5
	ds_write_b32 v5, v6 offset:19456
; %bb.245:
	s_or_b32 exec_lo, exec_lo, s1
	s_mov_b32 s2, exec_lo
	s_waitcnt lgkmcnt(0)
	s_barrier
	buffer_gl0_inv
	v_cmpx_lt_i32_e64 v0, v3
	s_cbranch_execz .LBB27_248
; %bb.246:
	v_lshlrev_b64 v[5:6], 2, v[1:2]
	v_or_b32_e32 v7, 0x4c00, v22
	v_mov_b32_e32 v8, v0
	s_mov_b32 s3, 0
	v_add_co_u32 v5, vcc_lo, s42, v5
	v_add_co_ci_u32_e64 v6, null, s43, v6, vcc_lo
	v_add_co_u32 v5, vcc_lo, v5, v22
	v_add_co_ci_u32_e64 v6, null, 0, v6, vcc_lo
	.p2align	6
.LBB27_247:                             ; =>This Inner Loop Header: Depth=1
	ds_read_b32 v9, v7
	v_add_nc_u32_e32 v8, 0x100, v8
	v_add_nc_u32_e32 v7, 0x400, v7
	v_cmp_ge_i32_e32 vcc_lo, v8, v3
	s_or_b32 s3, vcc_lo, s3
	s_waitcnt lgkmcnt(0)
	global_store_dword v[5:6], v9, off
	v_add_co_u32 v5, s1, 0x400, v5
	v_add_co_ci_u32_e64 v6, null, 0, v6, s1
	s_andn2_b32 exec_lo, exec_lo, s3
	s_cbranch_execnz .LBB27_247
.LBB27_248:
	s_or_b32 exec_lo, exec_lo, s2
	s_and_saveexec_b32 s1, s0
	s_cbranch_execz .LBB27_250
; %bb.249:
	v_add_co_u32 v1, vcc_lo, v3, v1
	v_mov_b32_e32 v5, 0
	v_add_co_ci_u32_e64 v2, null, v4, v2, vcc_lo
	global_store_dwordx2 v5, v[1:2], s[38:39]
.LBB27_250:
	s_or_b32 exec_lo, exec_lo, s1
	s_mov_b32 s0, 0
.LBB27_251:
	s_and_b32 vcc_lo, exec_lo, s0
	s_cbranch_vccz .LBB27_472
; %bb.252:
	v_mov_b32_e32 v1, 0
	v_subrev_nc_u32_e32 v2, s37, v0
	v_lshlrev_b32_e32 v4, 2, v0
	v_or_b32_e32 v11, 0x100, v0
	v_or_b32_e32 v12, 0x200, v0
	v_mov_b32_e32 v3, v1
	v_mov_b32_e32 v8, v1
	v_or_b32_e32 v23, 0x300, v0
	v_subrev_nc_u32_e32 v7, s37, v11
	v_or_b32_e32 v24, 0x500, v0
	v_lshlrev_b64 v[5:6], 2, v[2:3]
	v_add_co_u32 v2, vcc_lo, v20, v4
	v_add_co_ci_u32_e64 v3, null, 0, v21, vcc_lo
	v_or_b32_e32 v28, 0x800, v0
	v_add_co_u32 v9, vcc_lo, v18, v5
	v_add_co_ci_u32_e64 v10, null, v19, v6, vcc_lo
	v_cmp_gt_i32_e32 vcc_lo, s37, v0
	v_lshlrev_b64 v[5:6], 2, v[7:8]
	v_or_b32_e32 v29, 0xa00, v0
	v_cndmask_b32_e32 v8, v10, v3, vcc_lo
	v_cndmask_b32_e32 v7, v9, v2, vcc_lo
	v_subrev_nc_u32_e32 v9, s37, v12
	v_mov_b32_e32 v10, v1
	v_add_co_u32 v13, vcc_lo, 0x400, v2
	v_add_co_ci_u32_e64 v14, null, 0, v3, vcc_lo
	v_add_co_u32 v15, vcc_lo, v18, v5
	v_add_co_ci_u32_e64 v16, null, v19, v6, vcc_lo
	v_lshlrev_b64 v[5:6], 2, v[9:10]
	v_cmp_gt_i32_e32 vcc_lo, s37, v11
	v_add_co_u32 v11, s0, 0x800, v2
	v_add_co_ci_u32_e64 v22, null, 0, v3, s0
	v_add_co_u32 v5, s0, v18, v5
	v_add_co_ci_u32_e64 v6, null, v19, v6, s0
	v_cmp_gt_i32_e64 s0, s37, v12
	v_cndmask_b32_e32 v10, v16, v14, vcc_lo
	v_cndmask_b32_e32 v9, v15, v13, vcc_lo
	v_subrev_nc_u32_e32 v13, s37, v23
	v_mov_b32_e32 v14, v1
	v_cndmask_b32_e64 v12, v6, v22, s0
	v_cndmask_b32_e64 v11, v5, v11, s0
	global_load_dword v6, v[7:8], off
	global_load_dword v7, v[9:10], off
	;; [unrolled: 1-line block ×3, first 2 shown]
	v_or_b32_e32 v12, 0x400, v0
	v_lshlrev_b64 v[8:9], 2, v[13:14]
	v_mov_b32_e32 v11, v1
	v_add_co_u32 v13, vcc_lo, 0xc00, v2
	v_subrev_nc_u32_e32 v10, s37, v12
	v_add_co_ci_u32_e64 v14, null, 0, v3, vcc_lo
	v_add_co_u32 v16, vcc_lo, v18, v8
	v_lshlrev_b32_e32 v15, 2, v12
	v_add_co_ci_u32_e64 v22, null, v19, v9, vcc_lo
	v_lshlrev_b64 v[8:9], 2, v[10:11]
	v_cmp_gt_i32_e32 vcc_lo, s37, v23
	v_add_co_u32 v15, s0, v20, v15
	v_add_co_ci_u32_e64 v23, null, 0, v21, s0
	v_add_co_u32 v25, s0, v18, v8
	v_add_co_ci_u32_e64 v26, null, v19, v9, s0
	v_subrev_nc_u32_e32 v8, s37, v24
	v_mov_b32_e32 v9, v1
	v_cmp_gt_i32_e64 s0, s37, v12
	v_cndmask_b32_e32 v11, v22, v14, vcc_lo
	v_cndmask_b32_e32 v10, v16, v13, vcc_lo
	v_add_co_u32 v16, vcc_lo, 0x1400, v2
	v_lshlrev_b64 v[8:9], 2, v[8:9]
	v_cndmask_b32_e64 v13, v26, v23, s0
	v_or_b32_e32 v23, 0x600, v0
	v_cndmask_b32_e64 v12, v25, v15, s0
	v_add_co_ci_u32_e64 v22, null, 0, v3, vcc_lo
	v_add_co_u32 v25, vcc_lo, v18, v8
	v_add_co_ci_u32_e64 v26, null, v19, v9, vcc_lo
	v_cmp_gt_i32_e32 vcc_lo, s37, v24
	v_subrev_nc_u32_e32 v14, s37, v23
	v_mov_b32_e32 v15, v1
	global_load_dword v8, v[10:11], off
	global_load_dword v9, v[12:13], off
	v_cndmask_b32_e32 v10, v25, v16, vcc_lo
	v_or_b32_e32 v16, 0x700, v0
	v_lshlrev_b64 v[12:13], 2, v[14:15]
	v_cndmask_b32_e32 v11, v26, v22, vcc_lo
	v_add_co_u32 v22, vcc_lo, 0x1800, v2
	v_subrev_nc_u32_e32 v14, s37, v16
	v_add_co_ci_u32_e64 v24, null, 0, v3, vcc_lo
	v_add_co_u32 v25, vcc_lo, v18, v12
	v_add_co_ci_u32_e64 v26, null, v19, v13, vcc_lo
	v_lshlrev_b64 v[12:13], 2, v[14:15]
	v_add_co_u32 v14, s0, 0x1c00, v2
	v_cmp_gt_i32_e32 vcc_lo, s37, v23
	v_add_co_ci_u32_e64 v15, null, 0, v3, s0
	v_add_co_u32 v23, s0, v18, v12
	v_add_co_ci_u32_e64 v27, null, v19, v13, s0
	v_cmp_gt_i32_e64 s0, s37, v16
	v_cndmask_b32_e32 v12, v25, v22, vcc_lo
	v_subrev_nc_u32_e32 v22, s37, v28
	v_cndmask_b32_e32 v13, v26, v24, vcc_lo
	global_load_dword v10, v[10:11], off
	global_load_dword v11, v[12:13], off
	v_cndmask_b32_e64 v15, v27, v15, s0
	v_cndmask_b32_e64 v14, v23, v14, s0
	v_mov_b32_e32 v23, v1
	v_lshlrev_b32_e32 v16, 2, v28
	v_add_co_u32 v27, s0, 0x2400, v2
	global_load_dword v12, v[14:15], off
	v_lshlrev_b64 v[13:14], 2, v[22:23]
	v_or_b32_e32 v22, 0x900, v0
	v_add_co_u32 v23, vcc_lo, v20, v16
	v_mov_b32_e32 v16, v1
	v_add_co_ci_u32_e64 v24, null, 0, v21, vcc_lo
	v_subrev_nc_u32_e32 v15, s37, v22
	v_add_co_u32 v25, vcc_lo, v18, v13
	v_add_co_ci_u32_e64 v26, null, v19, v14, vcc_lo
	v_lshlrev_b64 v[13:14], 2, v[15:16]
	v_cmp_gt_i32_e32 vcc_lo, s37, v28
	v_add_co_ci_u32_e64 v28, null, 0, v3, s0
	v_add_co_u32 v30, s0, v18, v13
	v_add_co_ci_u32_e64 v31, null, v19, v14, s0
	v_subrev_nc_u32_e32 v13, s37, v29
	v_mov_b32_e32 v14, v1
	v_cmp_gt_i32_e64 s0, s37, v22
	v_cndmask_b32_e32 v16, v26, v24, vcc_lo
	v_cndmask_b32_e32 v15, v25, v23, vcc_lo
	v_add_co_u32 v26, vcc_lo, 0x2800, v2
	v_lshlrev_b64 v[13:14], 2, v[13:14]
	v_cndmask_b32_e64 v23, v31, v28, s0
	v_or_b32_e32 v28, 0xb00, v0
	v_cndmask_b32_e64 v22, v30, v27, s0
	v_add_co_ci_u32_e64 v27, null, 0, v3, vcc_lo
	v_add_co_u32 v30, vcc_lo, v18, v13
	v_add_co_ci_u32_e64 v31, null, v19, v14, vcc_lo
	v_cmp_gt_i32_e32 vcc_lo, s37, v29
	v_subrev_nc_u32_e32 v24, s37, v28
	v_mov_b32_e32 v25, v1
	global_load_dword v13, v[15:16], off
	global_load_dword v14, v[22:23], off
	v_cndmask_b32_e32 v15, v30, v26, vcc_lo
	v_or_b32_e32 v26, 0xc00, v0
	v_lshlrev_b64 v[22:23], 2, v[24:25]
	v_cndmask_b32_e32 v16, v31, v27, vcc_lo
	v_add_co_u32 v27, vcc_lo, 0x2c00, v2
	v_subrev_nc_u32_e32 v24, s37, v26
	v_add_co_ci_u32_e64 v29, null, 0, v3, vcc_lo
	v_lshlrev_b32_e32 v30, 2, v26
	v_add_co_u32 v31, vcc_lo, v18, v22
	v_add_co_ci_u32_e64 v32, null, v19, v23, vcc_lo
	v_cmp_gt_i32_e32 vcc_lo, s37, v28
	v_lshlrev_b64 v[22:23], 2, v[24:25]
	v_or_b32_e32 v28, 0xd00, v0
	v_add_co_u32 v24, s0, v20, v30
	v_add_co_ci_u32_e64 v25, null, 0, v21, s0
	v_subrev_nc_u32_e32 v20, s37, v28
	v_mov_b32_e32 v21, v1
	v_add_co_u32 v30, s0, v18, v22
	v_add_co_ci_u32_e64 v33, null, v19, v23, s0
	v_cndmask_b32_e32 v23, v32, v29, vcc_lo
	v_or_b32_e32 v29, 0xe00, v0
	v_lshlrev_b64 v[20:21], 2, v[20:21]
	v_cndmask_b32_e32 v22, v31, v27, vcc_lo
	v_cmp_gt_i32_e32 vcc_lo, s37, v26
	v_mov_b32_e32 v27, v1
	v_subrev_nc_u32_e32 v26, s37, v29
	v_add_co_u32 v31, s0, 0x3400, v2
	v_cndmask_b32_e32 v25, v33, v25, vcc_lo
	v_add_co_ci_u32_e64 v32, null, 0, v3, s0
	v_add_co_u32 v33, s0, v18, v20
	v_add_co_ci_u32_e64 v34, null, v19, v21, s0
	v_lshlrev_b64 v[20:21], 2, v[26:27]
	v_cmp_gt_i32_e64 s0, s37, v28
	v_add_co_u32 v28, s1, 0x3800, v2
	v_add_co_ci_u32_e64 v35, null, 0, v3, s1
	v_add_co_u32 v20, s1, v18, v20
	v_add_co_ci_u32_e64 v21, null, v19, v21, s1
	v_cmp_gt_i32_e64 s1, s37, v29
	v_cndmask_b32_e32 v24, v30, v24, vcc_lo
	v_cndmask_b32_e64 v27, v34, v32, s0
	v_cndmask_b32_e64 v26, v33, v31, s0
	s_mov_b32 s0, exec_lo
	v_cndmask_b32_e64 v29, v21, v35, s1
	v_cndmask_b32_e64 v28, v20, v28, s1
	global_load_dword v15, v[15:16], off
	global_load_dword v16, v[22:23], off
	;; [unrolled: 1-line block ×5, first 2 shown]
	v_or_b32_e32 v25, 0xf00, v0
	v_add_nc_u32_e32 v23, s37, v17
	v_mov_b32_e32 v24, 0
	v_cmpx_lt_i32_e64 v25, v23
	s_cbranch_execz .LBB27_254
; %bb.253:
	v_subrev_nc_u32_e32 v26, s37, v25
	v_mov_b32_e32 v27, 0
	v_add_co_u32 v2, vcc_lo, 0x3c00, v2
	v_add_co_ci_u32_e64 v3, null, 0, v3, vcc_lo
	v_lshlrev_b64 v[26:27], 2, v[26:27]
	v_add_co_u32 v18, vcc_lo, v18, v26
	v_add_co_ci_u32_e64 v19, null, v19, v27, vcc_lo
	v_cmp_gt_i32_e32 vcc_lo, s37, v25
	v_cndmask_b32_e32 v3, v19, v3, vcc_lo
	v_cndmask_b32_e32 v2, v18, v2, vcc_lo
	global_load_dword v24, v[2:3], off
.LBB27_254:
	s_or_b32 exec_lo, exec_lo, s0
	v_lshlrev_b32_e32 v2, 4, v0
	s_waitcnt vmcnt(13)
	ds_write2st64_b32 v4, v6, v7 offset0:4 offset1:8
	s_waitcnt vmcnt(11)
	ds_write2st64_b32 v4, v5, v8 offset0:12 offset1:16
	;; [unrolled: 2-line block ×5, first 2 shown]
	s_lshl_b32 s1, s37, 2
	s_mov_b32 s2, 0
	v_min_i32_e32 v3, v23, v2
	s_mov_b32 s0, exec_lo
	s_waitcnt vmcnt(3)
	ds_write2st64_b32 v4, v15, v16 offset0:44 offset1:48
	s_waitcnt vmcnt(1)
	ds_write2st64_b32 v4, v20, v21 offset0:52 offset1:56
	;; [unrolled: 2-line block ×3, first 2 shown]
	s_waitcnt lgkmcnt(0)
	s_waitcnt_vscnt null, 0x0
	s_barrier
	v_sub_nc_u32_e32 v2, v3, v17
	v_min_i32_e32 v5, s37, v3
	buffer_gl0_inv
	v_max_i32_e32 v2, 0, v2
	v_cmpx_lt_i32_e64 v2, v5
	s_cbranch_execz .LBB27_258
; %bb.255:
	v_lshlrev_b32_e32 v6, 2, v3
	v_add3_u32 v6, s1, v6, 0x400
	.p2align	6
.LBB27_256:                             ; =>This Inner Loop Header: Depth=1
	v_add_nc_u32_e32 v7, v5, v2
	v_lshrrev_b32_e32 v7, 1, v7
	v_not_b32_e32 v8, v7
	v_lshlrev_b32_e32 v9, 2, v7
	v_add_nc_u32_e32 v10, 1, v7
	v_lshl_add_u32 v8, v8, 2, v6
	ds_read_b32 v9, v9 offset:1024
	ds_read_b32 v8, v8
	s_waitcnt lgkmcnt(0)
	v_cmp_lt_i32_e32 vcc_lo, v8, v9
	v_cndmask_b32_e32 v5, v5, v7, vcc_lo
	v_cndmask_b32_e32 v2, v10, v2, vcc_lo
	v_cmp_ge_i32_e32 vcc_lo, v2, v5
	s_or_b32 s2, vcc_lo, s2
	s_andn2_b32 exec_lo, exec_lo, s2
	s_cbranch_execnz .LBB27_256
; %bb.257:
	s_or_b32 exec_lo, exec_lo, s2
.LBB27_258:
	s_or_b32 exec_lo, exec_lo, s0
	v_sub_nc_u32_e32 v8, v3, v2
	v_mov_b32_e32 v6, 0
	s_mov_b32 s2, exec_lo
	v_cmpx_lt_i32_e64 v8, v17
	s_cbranch_execz .LBB27_293
; %bb.259:
	v_lshl_add_u32 v6, v8, 2, s1
	v_mov_b32_e32 v5, 0
	v_mov_b32_e32 v9, 0
	s_mov_b32 s0, exec_lo
	ds_read_b32 v7, v6 offset:1024
	v_cmpx_lt_i32_e32 0, v2
	s_cbranch_execnz .LBB27_269
; %bb.260:
	s_or_b32 exec_lo, exec_lo, s0
	s_mov_b32 s0, exec_lo
	v_cmpx_lt_i32_e64 v5, v9
	s_cbranch_execnz .LBB27_270
.LBB27_261:
	s_or_b32 exec_lo, exec_lo, s0
	s_mov_b32 s0, exec_lo
	v_cmpx_lt_i32_e64 v5, v9
	s_cbranch_execnz .LBB27_271
.LBB27_262:
	s_or_b32 exec_lo, exec_lo, s0
	s_mov_b32 s0, exec_lo
	v_cmpx_lt_i32_e64 v5, v9
	s_cbranch_execnz .LBB27_272
.LBB27_263:
	s_or_b32 exec_lo, exec_lo, s0
	s_mov_b32 s0, exec_lo
	v_cmpx_lt_i32_e64 v5, v9
	s_cbranch_execnz .LBB27_273
	s_branch .LBB27_276
.LBB27_264:
	v_add_nc_u32_e32 v6, 1, v5
	v_cndmask_b32_e64 v7, v24, v23, s1
	v_lshlrev_b32_e32 v8, 2, v5
	v_mov_b32_e32 v5, v6
	ds_write_b32 v8, v7 offset:19456
	s_or_b32 exec_lo, exec_lo, s17
	s_and_saveexec_b32 s1, s45
	s_cbranch_execz .LBB27_220
.LBB27_265:
	v_cndmask_b32_e64 v6, v26, v25, s2
	v_lshlrev_b32_e32 v7, 2, v5
	v_add_nc_u32_e32 v5, 1, v5
	ds_write_b32 v7, v6 offset:19456
	s_or_b32 exec_lo, exec_lo, s1
	s_and_saveexec_b32 s1, s36
	s_cbranch_execz .LBB27_221
.LBB27_266:
	v_cndmask_b32_e64 v6, v28, v27, s3
	v_lshlrev_b32_e32 v7, 2, v5
	v_add_nc_u32_e32 v5, 1, v5
	ds_write_b32 v7, v6 offset:19456
	s_or_b32 exec_lo, exec_lo, s1
	s_and_saveexec_b32 s1, s20
	s_cbranch_execz .LBB27_222
.LBB27_267:
	v_cndmask_b32_e64 v6, v30, v29, s4
	v_lshlrev_b32_e32 v7, 2, v5
	v_add_nc_u32_e32 v5, 1, v5
	ds_write_b32 v7, v6 offset:19456
	s_or_b32 exec_lo, exec_lo, s1
	s_and_saveexec_b32 s1, s21
	s_cbranch_execz .LBB27_223
.LBB27_268:
	v_cndmask_b32_e64 v6, v32, v31, s5
	v_lshlrev_b32_e32 v7, 2, v5
	v_add_nc_u32_e32 v5, 1, v5
	ds_write_b32 v7, v6 offset:19456
	s_or_b32 exec_lo, exec_lo, s1
	s_and_saveexec_b32 s1, s19
	s_cbranch_execnz .LBB27_224
	s_branch .LBB27_225
.LBB27_269:
	v_mul_lo_u32 v5, 0x1ff, v2
	v_ashrrev_i32_e32 v9, 9, v5
	v_lshlrev_b32_e32 v5, 2, v9
	v_add_nc_u32_e32 v10, 1, v9
	ds_read_b32 v5, v5 offset:1024
	s_waitcnt lgkmcnt(0)
	v_cmp_lt_i32_e32 vcc_lo, v5, v7
	v_cndmask_b32_e32 v5, 0, v10, vcc_lo
	v_cndmask_b32_e32 v9, v9, v2, vcc_lo
	s_or_b32 exec_lo, exec_lo, s0
	s_mov_b32 s0, exec_lo
	v_cmpx_lt_i32_e64 v5, v9
	s_cbranch_execz .LBB27_261
.LBB27_270:
	v_sub_nc_u32_e32 v10, v5, v9
	v_lshl_add_u32 v10, v9, 7, v10
	v_ashrrev_i32_e32 v10, 7, v10
	v_lshlrev_b32_e32 v11, 2, v10
	v_add_nc_u32_e32 v12, 1, v10
	ds_read_b32 v11, v11 offset:1024
	s_waitcnt lgkmcnt(0)
	v_cmp_lt_i32_e32 vcc_lo, v11, v7
	v_cndmask_b32_e32 v5, v5, v12, vcc_lo
	v_cndmask_b32_e32 v9, v10, v9, vcc_lo
	s_or_b32 exec_lo, exec_lo, s0
	s_mov_b32 s0, exec_lo
	v_cmpx_lt_i32_e64 v5, v9
	s_cbranch_execz .LBB27_262
.LBB27_271:
	v_sub_nc_u32_e32 v10, v5, v9
	v_lshl_add_u32 v10, v9, 5, v10
	v_ashrrev_i32_e32 v10, 5, v10
	v_lshlrev_b32_e32 v11, 2, v10
	v_add_nc_u32_e32 v12, 1, v10
	ds_read_b32 v11, v11 offset:1024
	s_waitcnt lgkmcnt(0)
	v_cmp_lt_i32_e32 vcc_lo, v11, v7
	v_cndmask_b32_e32 v5, v5, v12, vcc_lo
	v_cndmask_b32_e32 v9, v10, v9, vcc_lo
	s_or_b32 exec_lo, exec_lo, s0
	s_mov_b32 s0, exec_lo
	v_cmpx_lt_i32_e64 v5, v9
	s_cbranch_execz .LBB27_263
.LBB27_272:
	v_sub_nc_u32_e32 v10, v5, v9
	v_lshl_add_u32 v10, v9, 4, v10
	v_ashrrev_i32_e32 v10, 4, v10
	v_lshlrev_b32_e32 v11, 2, v10
	v_add_nc_u32_e32 v12, 1, v10
	ds_read_b32 v11, v11 offset:1024
	s_waitcnt lgkmcnt(0)
	v_cmp_lt_i32_e32 vcc_lo, v11, v7
	v_cndmask_b32_e32 v5, v5, v12, vcc_lo
	v_cndmask_b32_e32 v9, v10, v9, vcc_lo
	s_or_b32 exec_lo, exec_lo, s0
	s_mov_b32 s0, exec_lo
	v_cmpx_lt_i32_e64 v5, v9
	s_cbranch_execz .LBB27_276
.LBB27_273:
	s_mov_b32 s3, 0
.LBB27_274:                             ; =>This Inner Loop Header: Depth=1
	v_sub_nc_u32_e32 v10, v5, v9
	v_lshl_add_u32 v10, v9, 1, v10
	v_ashrrev_i32_e32 v10, 1, v10
	v_lshlrev_b32_e32 v11, 2, v10
	v_add_nc_u32_e32 v12, 1, v10
	ds_read_b32 v11, v11 offset:1024
	s_waitcnt lgkmcnt(0)
	v_cmp_lt_i32_e32 vcc_lo, v11, v7
	v_cndmask_b32_e32 v5, v5, v12, vcc_lo
	v_cndmask_b32_e32 v9, v10, v9, vcc_lo
	v_cmp_ge_i32_e32 vcc_lo, v5, v9
	s_or_b32 s3, vcc_lo, s3
	s_andn2_b32 exec_lo, exec_lo, s3
	s_cbranch_execnz .LBB27_274
; %bb.275:
	s_or_b32 exec_lo, exec_lo, s3
.LBB27_276:
	s_or_b32 exec_lo, exec_lo, s0
	v_mov_b32_e32 v9, 0
	v_mov_b32_e32 v10, v8
	s_mov_b32 s0, exec_lo
	v_cmpx_lt_i32_e32 0, v8
	s_cbranch_execnz .LBB27_281
; %bb.277:
	s_or_b32 exec_lo, exec_lo, s0
	s_mov_b32 s0, exec_lo
	v_cmpx_lt_i32_e64 v9, v10
	s_cbranch_execnz .LBB27_282
.LBB27_278:
	s_or_b32 exec_lo, exec_lo, s0
	s_mov_b32 s0, exec_lo
	v_cmpx_lt_i32_e64 v9, v10
	s_cbranch_execnz .LBB27_283
.LBB27_279:
	s_or_b32 exec_lo, exec_lo, s0
	s_mov_b32 s0, exec_lo
	v_cmpx_lt_i32_e64 v9, v10
	s_cbranch_execnz .LBB27_284
.LBB27_280:
	s_or_b32 exec_lo, exec_lo, s0
	s_mov_b32 s0, exec_lo
	v_cmpx_lt_i32_e64 v9, v10
	s_cbranch_execnz .LBB27_285
	s_branch .LBB27_288
.LBB27_281:
	v_mul_lo_u32 v9, 0x1ff, v8
	v_lshrrev_b32_e32 v10, 9, v9
	v_lshl_add_u32 v9, v10, 2, s1
	v_add_nc_u32_e32 v11, 1, v10
	ds_read_b32 v9, v9 offset:1024
	s_waitcnt lgkmcnt(0)
	v_cmp_lt_i32_e32 vcc_lo, v9, v7
	v_cndmask_b32_e32 v9, 0, v11, vcc_lo
	v_cndmask_b32_e32 v10, v10, v8, vcc_lo
	s_or_b32 exec_lo, exec_lo, s0
	s_mov_b32 s0, exec_lo
	v_cmpx_lt_i32_e64 v9, v10
	s_cbranch_execz .LBB27_278
.LBB27_282:
	v_sub_nc_u32_e32 v11, v9, v10
	v_lshl_add_u32 v11, v10, 7, v11
	v_ashrrev_i32_e32 v11, 7, v11
	v_lshl_add_u32 v12, v11, 2, s1
	v_add_nc_u32_e32 v13, 1, v11
	ds_read_b32 v12, v12 offset:1024
	s_waitcnt lgkmcnt(0)
	v_cmp_lt_i32_e32 vcc_lo, v12, v7
	v_cndmask_b32_e32 v9, v9, v13, vcc_lo
	v_cndmask_b32_e32 v10, v11, v10, vcc_lo
	s_or_b32 exec_lo, exec_lo, s0
	s_mov_b32 s0, exec_lo
	v_cmpx_lt_i32_e64 v9, v10
	s_cbranch_execz .LBB27_279
.LBB27_283:
	v_sub_nc_u32_e32 v11, v9, v10
	v_lshl_add_u32 v11, v10, 5, v11
	v_ashrrev_i32_e32 v11, 5, v11
	v_lshl_add_u32 v12, v11, 2, s1
	v_add_nc_u32_e32 v13, 1, v11
	ds_read_b32 v12, v12 offset:1024
	s_waitcnt lgkmcnt(0)
	v_cmp_lt_i32_e32 vcc_lo, v12, v7
	v_cndmask_b32_e32 v9, v9, v13, vcc_lo
	v_cndmask_b32_e32 v10, v11, v10, vcc_lo
	s_or_b32 exec_lo, exec_lo, s0
	s_mov_b32 s0, exec_lo
	v_cmpx_lt_i32_e64 v9, v10
	s_cbranch_execz .LBB27_280
.LBB27_284:
	v_sub_nc_u32_e32 v11, v9, v10
	v_lshl_add_u32 v11, v10, 4, v11
	v_ashrrev_i32_e32 v11, 4, v11
	v_lshl_add_u32 v12, v11, 2, s1
	v_add_nc_u32_e32 v13, 1, v11
	ds_read_b32 v12, v12 offset:1024
	s_waitcnt lgkmcnt(0)
	v_cmp_lt_i32_e32 vcc_lo, v12, v7
	v_cndmask_b32_e32 v9, v9, v13, vcc_lo
	v_cndmask_b32_e32 v10, v11, v10, vcc_lo
	s_or_b32 exec_lo, exec_lo, s0
	s_mov_b32 s0, exec_lo
	v_cmpx_lt_i32_e64 v9, v10
	s_cbranch_execz .LBB27_288
.LBB27_285:
	s_mov_b32 s3, 0
.LBB27_286:                             ; =>This Inner Loop Header: Depth=1
	v_sub_nc_u32_e32 v11, v9, v10
	v_lshl_add_u32 v11, v10, 1, v11
	v_ashrrev_i32_e32 v11, 1, v11
	v_lshl_add_u32 v12, v11, 2, s1
	v_add_nc_u32_e32 v13, 1, v11
	ds_read_b32 v12, v12 offset:1024
	s_waitcnt lgkmcnt(0)
	v_cmp_lt_i32_e32 vcc_lo, v12, v7
	v_cndmask_b32_e32 v9, v9, v13, vcc_lo
	v_cndmask_b32_e32 v10, v11, v10, vcc_lo
	v_cmp_ge_i32_e32 vcc_lo, v9, v10
	s_or_b32 s3, vcc_lo, s3
	s_andn2_b32 exec_lo, exec_lo, s3
	s_cbranch_execnz .LBB27_286
; %bb.287:
	s_or_b32 exec_lo, exec_lo, s3
.LBB27_288:
	s_or_b32 exec_lo, exec_lo, s0
	v_sub_nc_u32_e32 v2, v2, v5
	v_sub_nc_u32_e32 v11, v8, v9
	s_mov_b32 s0, exec_lo
	v_add_nc_u32_e32 v10, v11, v2
	v_ashrrev_i32_e32 v2, 1, v10
	v_max_i32_e32 v2, v2, v11
	v_add3_u32 v9, v9, v2, 1
	v_min_i32_e32 v9, v9, v17
	v_sub_nc_u32_e32 v9, v9, v8
	v_mov_b32_e32 v8, 0
	v_cmpx_lt_i32_e32 0, v9
	s_cbranch_execz .LBB27_292
; %bb.289:
	v_mov_b32_e32 v8, 0
	s_mov_b32 s3, 0
.LBB27_290:                             ; =>This Inner Loop Header: Depth=1
	v_add_nc_u32_e32 v12, v8, v9
	v_lshrrev_b32_e32 v12, 1, v12
	v_lshl_add_u32 v13, v12, 2, v6
	v_add_nc_u32_e32 v14, 1, v12
	ds_read_b32 v13, v13 offset:1024
	s_waitcnt lgkmcnt(0)
	v_cmp_lt_i32_e32 vcc_lo, v7, v13
	v_cndmask_b32_e32 v8, v14, v8, vcc_lo
	v_cndmask_b32_e32 v9, v9, v12, vcc_lo
	v_cmp_ge_i32_e32 vcc_lo, v8, v9
	s_or_b32 s3, vcc_lo, s3
	s_andn2_b32 exec_lo, exec_lo, s3
	s_cbranch_execnz .LBB27_290
; %bb.291:
	s_or_b32 exec_lo, exec_lo, s3
.LBB27_292:
	s_or_b32 exec_lo, exec_lo, s0
	v_add_nc_u32_e32 v6, v8, v11
	s_waitcnt lgkmcnt(0)
	v_min_i32_e32 v7, v6, v2
	v_cmp_lt_i32_e32 vcc_lo, v2, v6
	v_sub_nc_u32_e32 v8, v10, v7
	v_add_nc_u32_e32 v7, 1, v7
	v_add_nc_u32_e32 v2, v8, v5
	v_cmp_eq_u32_e64 s0, v8, v7
	s_and_b32 s0, vcc_lo, s0
	v_cndmask_b32_e64 v6, 0, 1, s0
.LBB27_293:
	s_or_b32 exec_lo, exec_lo, s2
	v_add_nc_u32_e32 v3, v6, v3
	s_lshl_b32 s0, s37, 16
	v_or_b32_e32 v6, s0, v17
	v_sub_co_u32 v8, s0, v0, 1
	v_sub_nc_u32_e32 v5, v3, v2
	v_lshl_or_b32 v7, v2, 16, v5
	v_cndmask_b32_e64 v6, v7, v6, s0
	v_cndmask_b32_e64 v7, v8, 0xff, s0
	v_lshlrev_b32_e32 v8, 2, v2
	v_lshlrev_b32_e32 v9, 2, v7
	v_lshl_add_u32 v7, v5, 2, s1
	ds_write_b32 v9, v6
	s_waitcnt lgkmcnt(0)
	s_barrier
	buffer_gl0_inv
	ds_read_b32 v6, v4
	ds_read_b32 v18, v8 offset:1024
	ds_read_b32 v19, v7 offset:1024
	s_waitcnt lgkmcnt(2)
	v_cmp_le_i32_sdwa s2, sext(v6), v2 src0_sel:WORD_1 src1_sel:DWORD
	v_cmp_le_i32_sdwa s3, v6, v5 src0_sel:WORD_0 src1_sel:DWORD
	s_waitcnt lgkmcnt(0)
	v_cmp_lt_i32_e32 vcc_lo, v19, v18
	v_mov_b32_e32 v20, v18
	v_cndmask_b32_e64 v9, 0, 1, s2
	s_or_b32 s1, s2, s3
	v_cndmask_b32_e64 v4, 0, 1, vcc_lo
	v_cndmask_b32_e64 v4, v4, v9, s1
	v_and_b32_e32 v4, 1, v4
	v_cmp_eq_u32_e32 vcc_lo, 1, v4
	s_xor_b32 s5, vcc_lo, -1
	s_and_saveexec_b32 s4, s5
; %bb.294:
	ds_read_b32 v20, v8 offset:1028
	v_add_nc_u32_e32 v2, 1, v2
; %bb.295:
	s_or_b32 exec_lo, exec_lo, s4
	s_xor_b32 s4, s2, -1
	v_cmp_lt_i32_e64 s2, v18, v19
	v_mov_b32_e32 v21, v19
	v_cndmask_b32_e64 v4, 0, 1, s2
	s_and_b32 s2, s3, s4
	v_cndmask_b32_e64 v8, 0, 1, s2
	v_cndmask_b32_e64 v4, v4, v8, s1
	v_and_b32_e32 v4, 1, v4
	v_cmp_eq_u32_e64 s1, 1, v4
	v_add_nc_u32_e32 v4, s37, v5
	s_xor_b32 s3, s1, -1
	s_and_saveexec_b32 s2, s3
; %bb.296:
	ds_read_b32 v21, v7 offset:1028
	v_add_nc_u32_e32 v4, 1, v4
; %bb.297:
	s_or_b32 exec_lo, exec_lo, s2
	v_add_nc_u32_sdwa v9, v6, s37 dst_sel:DWORD dst_unused:UNUSED_PAD src0_sel:WORD_0 src1_sel:DWORD
	v_cmp_ge_i32_sdwa s4, v2, sext(v6) src0_sel:DWORD src1_sel:WORD_1
	s_waitcnt lgkmcnt(0)
	v_cmp_lt_i32_e64 s3, v21, v20
	v_mov_b32_e32 v22, v20
	v_cmp_ge_i32_e64 s2, v4, v9
	v_cndmask_b32_e64 v5, 0, 1, s4
	v_cndmask_b32_e64 v7, 0, 1, s3
	s_or_b32 s3, s4, s2
	v_cndmask_b32_e64 v5, v7, v5, s3
	v_and_b32_e32 v5, 1, v5
	v_cmp_eq_u32_e64 s17, 1, v5
	v_mov_b32_e32 v5, v2
	s_xor_b32 s5, s17, -1
	s_and_saveexec_b32 s3, s5
; %bb.298:
	v_lshlrev_b32_e32 v5, 2, v2
	ds_read_b32 v22, v5 offset:1028
	v_add_nc_u32_e32 v5, 1, v2
; %bb.299:
	s_or_b32 exec_lo, exec_lo, s3
	v_cmp_lt_i32_e64 s3, v20, v21
	s_xor_b32 s4, s4, -1
	v_mov_b32_e32 v23, v21
	v_mov_b32_e32 v7, v4
	s_or_b32 s2, s2, s3
	s_and_b32 s2, s4, s2
	s_xor_b32 s4, s2, -1
	s_and_saveexec_b32 s3, s4
; %bb.300:
	v_lshlrev_b32_e32 v7, 2, v4
	ds_read_b32 v23, v7 offset:1028
	v_add_nc_u32_e32 v7, 1, v4
; %bb.301:
	s_or_b32 exec_lo, exec_lo, s3
	v_cmp_ge_i32_sdwa s5, v5, sext(v6) src0_sel:DWORD src1_sel:WORD_1
	s_waitcnt lgkmcnt(0)
	v_cmp_lt_i32_e64 s4, v23, v22
	v_cmp_ge_i32_e64 s3, v7, v9
	v_mov_b32_e32 v24, v22
	v_cndmask_b32_e64 v8, 0, 1, s5
	v_cndmask_b32_e64 v10, 0, 1, s4
	s_or_b32 s4, s5, s3
	v_cndmask_b32_e64 v8, v10, v8, s4
	v_and_b32_e32 v8, 1, v8
	v_cmp_eq_u32_e64 s18, 1, v8
	v_mov_b32_e32 v8, v5
	s_xor_b32 s6, s18, -1
	s_and_saveexec_b32 s4, s6
; %bb.302:
	v_lshlrev_b32_e32 v8, 2, v5
	ds_read_b32 v24, v8 offset:1028
	v_add_nc_u32_e32 v8, 1, v5
; %bb.303:
	s_or_b32 exec_lo, exec_lo, s4
	v_cmp_lt_i32_e64 s4, v22, v23
	s_xor_b32 s5, s5, -1
	v_mov_b32_e32 v25, v23
	v_mov_b32_e32 v10, v7
	s_or_b32 s3, s3, s4
	s_and_b32 s3, s5, s3
	s_xor_b32 s5, s3, -1
	s_and_saveexec_b32 s4, s5
; %bb.304:
	v_lshlrev_b32_e32 v10, 2, v7
	ds_read_b32 v25, v10 offset:1028
	v_add_nc_u32_e32 v10, 1, v7
; %bb.305:
	s_or_b32 exec_lo, exec_lo, s4
	v_cmp_ge_i32_sdwa s6, v8, sext(v6) src0_sel:DWORD src1_sel:WORD_1
	s_waitcnt lgkmcnt(0)
	v_cmp_lt_i32_e64 s5, v25, v24
	v_cmp_ge_i32_e64 s4, v10, v9
	v_mov_b32_e32 v26, v24
	;; [unrolled: 34-line block ×4, first 2 shown]
	v_cndmask_b32_e64 v15, 0, 1, s8
	v_cndmask_b32_e64 v16, 0, 1, s7
	s_or_b32 s7, s8, s6
	v_cndmask_b32_e64 v15, v16, v15, s7
	v_and_b32_e32 v15, 1, v15
	v_cmp_eq_u32_e64 s21, 1, v15
	v_mov_b32_e32 v15, v13
	s_xor_b32 s9, s21, -1
	s_and_saveexec_b32 s7, s9
; %bb.314:
	v_lshlrev_b32_e32 v15, 2, v13
	ds_read_b32 v30, v15 offset:1028
	v_add_nc_u32_e32 v15, 1, v13
; %bb.315:
	s_or_b32 exec_lo, exec_lo, s7
	v_cmp_lt_i32_e64 s7, v28, v29
	s_xor_b32 s8, s8, -1
	v_mov_b32_e32 v31, v29
	v_mov_b32_e32 v16, v14
	s_or_b32 s6, s6, s7
	s_and_b32 s6, s8, s6
	s_xor_b32 s8, s6, -1
	s_and_saveexec_b32 s7, s8
; %bb.316:
	v_lshlrev_b32_e32 v16, 2, v14
	ds_read_b32 v31, v16 offset:1028
	v_add_nc_u32_e32 v16, 1, v14
; %bb.317:
	s_or_b32 exec_lo, exec_lo, s7
	v_cmp_ge_i32_sdwa s9, v15, sext(v6) src0_sel:DWORD src1_sel:WORD_1
	s_waitcnt lgkmcnt(0)
	v_cmp_lt_i32_e64 s8, v31, v30
	v_cmp_ge_i32_e64 s7, v16, v9
	v_cndmask_b32_e64 v17, 0, 1, s9
	v_cndmask_b32_e64 v32, 0, 1, s8
	s_or_b32 s8, s9, s7
	v_cndmask_b32_e64 v17, v32, v17, s8
	v_mov_b32_e32 v32, v30
	v_and_b32_e32 v17, 1, v17
	v_cmp_eq_u32_e64 s22, 1, v17
	v_mov_b32_e32 v17, v15
	s_xor_b32 s10, s22, -1
	s_and_saveexec_b32 s8, s10
; %bb.318:
	v_lshlrev_b32_e32 v17, 2, v15
	ds_read_b32 v32, v17 offset:1028
	v_add_nc_u32_e32 v17, 1, v15
; %bb.319:
	s_or_b32 exec_lo, exec_lo, s8
	v_cmp_lt_i32_e64 s8, v30, v31
	s_xor_b32 s9, s9, -1
	v_mov_b32_e32 v33, v31
	v_mov_b32_e32 v50, v16
	s_or_b32 s7, s7, s8
	s_and_b32 s7, s9, s7
	s_xor_b32 s9, s7, -1
	s_and_saveexec_b32 s8, s9
; %bb.320:
	v_lshlrev_b32_e32 v33, 2, v16
	v_add_nc_u32_e32 v50, 1, v16
	ds_read_b32 v33, v33 offset:1028
; %bb.321:
	s_or_b32 exec_lo, exec_lo, s8
	v_cmp_ge_i32_sdwa s10, v17, sext(v6) src0_sel:DWORD src1_sel:WORD_1
	s_waitcnt lgkmcnt(0)
	v_cmp_lt_i32_e64 s9, v33, v32
	v_cmp_ge_i32_e64 s8, v50, v9
	v_mov_b32_e32 v51, v17
	v_cndmask_b32_e64 v34, 0, 1, s10
	v_cndmask_b32_e64 v35, 0, 1, s9
	s_or_b32 s9, s10, s8
	v_cndmask_b32_e64 v34, v35, v34, s9
	v_and_b32_e32 v34, 1, v34
	v_cmp_eq_u32_e64 s23, 1, v34
	v_mov_b32_e32 v34, v32
	s_xor_b32 s11, s23, -1
	s_and_saveexec_b32 s9, s11
; %bb.322:
	v_lshlrev_b32_e32 v34, 2, v17
	v_add_nc_u32_e32 v51, 1, v17
	ds_read_b32 v34, v34 offset:1028
; %bb.323:
	s_or_b32 exec_lo, exec_lo, s9
	v_cmp_lt_i32_e64 s9, v32, v33
	s_xor_b32 s10, s10, -1
	v_mov_b32_e32 v35, v33
	v_mov_b32_e32 v52, v50
	s_or_b32 s8, s8, s9
	s_and_b32 s8, s10, s8
	s_xor_b32 s10, s8, -1
	s_and_saveexec_b32 s9, s10
; %bb.324:
	v_lshlrev_b32_e32 v35, 2, v50
	v_add_nc_u32_e32 v52, 1, v50
	ds_read_b32 v35, v35 offset:1028
; %bb.325:
	s_or_b32 exec_lo, exec_lo, s9
	v_cmp_ge_i32_sdwa s11, v51, sext(v6) src0_sel:DWORD src1_sel:WORD_1
	s_waitcnt lgkmcnt(0)
	v_cmp_lt_i32_e64 s10, v35, v34
	v_cmp_ge_i32_e64 s9, v52, v9
	v_mov_b32_e32 v53, v51
	v_cndmask_b32_e64 v36, 0, 1, s11
	v_cndmask_b32_e64 v37, 0, 1, s10
	s_or_b32 s10, s11, s9
	v_cndmask_b32_e64 v36, v37, v36, s10
	v_and_b32_e32 v36, 1, v36
	v_cmp_eq_u32_e64 s24, 1, v36
	v_mov_b32_e32 v36, v34
	s_xor_b32 s12, s24, -1
	s_and_saveexec_b32 s10, s12
; %bb.326:
	v_lshlrev_b32_e32 v36, 2, v51
	v_add_nc_u32_e32 v53, 1, v51
	ds_read_b32 v36, v36 offset:1028
	;; [unrolled: 34-line block ×8, first 2 shown]
; %bb.351:
	s_or_b32 exec_lo, exec_lo, s16
	v_cmp_lt_i32_e64 s16, v46, v47
	s_xor_b32 s31, s31, -1
	v_mov_b32_e32 v49, v47
	v_mov_b32_e32 v66, v64
	s_or_b32 s15, s15, s16
	s_and_b32 s15, s31, s15
	s_xor_b32 s31, s15, -1
	s_and_saveexec_b32 s16, s31
; %bb.352:
	v_lshlrev_b32_e32 v49, 2, v64
	v_add_nc_u32_e32 v66, 1, v64
	ds_read_b32 v49, v49 offset:1028
; %bb.353:
	s_or_b32 exec_lo, exec_lo, s16
	v_cmp_ge_i32_sdwa s33, v65, sext(v6) src0_sel:DWORD src1_sel:WORD_1
	s_waitcnt lgkmcnt(0)
	v_cmp_lt_i32_e64 s31, v49, v48
	v_cmp_ge_i32_e64 s16, v66, v9
	v_cmp_lt_i32_sdwa s34, v65, sext(v6) src0_sel:DWORD src1_sel:WORD_1
	v_add_nc_u32_sdwa v6, v9, sext(v6) dst_sel:DWORD dst_unused:UNUSED_PAD src0_sel:DWORD src1_sel:WORD_1
	v_cndmask_b32_e64 v67, 0, 1, s33
	v_cndmask_b32_e64 v68, 0, 1, s31
	s_or_b32 s31, s33, s16
	v_add_nc_u32_e32 v9, v64, v63
	v_add_nc_u32_e32 v65, v66, v65
	s_xor_b32 s47, s28, s13
	v_cndmask_b32_e64 v67, v68, v67, s31
	v_cmp_lt_i32_e64 s31, v48, v49
	v_add_nc_u32_e32 v5, v7, v5
	s_xor_b32 s49, s26, s11
	v_add_nc_u32_e32 v2, v4, v2
	v_and_b32_e32 v66, 1, v67
	s_or_b32 s16, s16, s31
	v_cmp_lt_i32_e64 s36, v5, v6
	s_and_b32 s16, s34, s16
	v_cmp_lt_i32_e64 s34, v9, v6
	v_add_nc_u32_e32 v9, v58, v57
	v_cmp_eq_u32_e64 s33, 1, v66
	v_add_nc_u32_e32 v3, s37, v3
	s_xor_b32 s54, s19, s4
	s_xor_b32 s19, s18, s3
	v_cmp_lt_i32_e64 s28, v9, v6
	v_add_nc_u32_e32 v9, v54, v53
	s_xor_b32 s39, s33, s16
	v_add_nc_u32_e32 v8, v10, v8
	v_cmp_lt_i32_e64 s18, v2, v6
	s_and_b32 s36, s36, s19
	v_cmp_lt_i32_e64 s26, v9, v6
	v_add_nc_u32_e32 v9, v50, v17
	v_cmp_lt_i32_e64 s19, v3, v6
	s_xor_b32 s17, s17, s2
	s_xor_b32 s38, vcc_lo, s1
	v_add_nc_u32_e32 v15, v16, v15
	v_cmp_lt_i32_e64 s33, v9, v6
	v_add_nc_u32_e32 v9, v12, v11
	v_add_nc_u32_e32 v13, v14, v13
	s_xor_b32 s52, s21, s6
	s_xor_b32 s53, s20, s5
	v_cmp_lt_i32_e64 s20, v8, v6
	v_cmp_lt_i32_e64 s21, v9, v6
	s_and_b32 s37, s18, s17
	s_and_b32 s38, s19, s38
	v_add_nc_u32_e32 v61, v62, v61
	v_add_nc_u32_e32 v59, v60, v59
	;; [unrolled: 1-line block ×4, first 2 shown]
	v_cndmask_b32_e64 v2, 0, 4, s36
	v_cndmask_b32_e64 v3, 0, 2, s37
	;; [unrolled: 1-line block ×3, first 2 shown]
	v_cmp_lt_i32_e64 s35, v15, v6
	s_xor_b32 s51, s22, s7
	v_cmp_lt_i32_e64 s22, v13, v6
	s_and_b32 s21, s21, s53
	s_and_b32 s20, s20, s54
	v_cmp_lt_i32_e64 s31, v65, v6
	s_xor_b32 s45, s30, s15
	v_cmp_lt_i32_e64 s30, v61, v6
	s_xor_b32 s46, s29, s14
	;; [unrolled: 2-line block ×4, first 2 shown]
	v_cmp_lt_i32_e64 s25, v51, v6
	v_cndmask_b32_e64 v5, 0, 16, s21
	v_cndmask_b32_e64 v6, 0, 8, s20
	v_or3_b32 v2, v3, v4, v2
	s_and_b32 s17, s35, s51
	s_and_b32 s19, s22, s52
	v_cndmask_b32_e64 v3, 0, 64, s17
	v_cndmask_b32_e64 v4, 0, 32, s19
	v_or3_b32 v2, v2, v6, v5
	s_xor_b32 s17, s23, s8
	s_xor_b32 s18, s24, s9
	s_and_b32 s17, s33, s17
	v_mov_b32_e32 v11, 0
	v_cndmask_b32_e64 v5, 0, 0x80, s17
	v_or3_b32 v55, v2, v4, v3
	s_and_b32 s17, s26, s50
	v_mbcnt_lo_u32_b32 v56, -1, 0
	v_cndmask_b32_e64 v2, 0, 0x200, s17
	s_and_b32 s17, s25, s18
	v_or_b32_e32 v54, v5, v55
	v_cndmask_b32_e64 v3, 0, 0x100, s17
	s_and_b32 s17, s28, s48
	v_cndmask_b32_e64 v4, 0, 0x800, s17
	s_and_b32 s17, s27, s49
	v_or3_b32 v53, v3, v2, v54
	v_cndmask_b32_e64 v5, 0, 0x400, s17
	s_and_b32 s17, s30, s46
	s_barrier
	v_cndmask_b32_e64 v2, 0, 0x2000, s17
	s_and_b32 s17, s29, s47
	v_or3_b32 v52, v5, v4, v53
	v_cndmask_b32_e64 v3, 0, 0x1000, s17
	s_and_b32 s17, s31, s39
	buffer_gl0_inv
	v_cndmask_b32_e64 v4, 0, 0x8000, s17
	s_and_b32 s17, s34, s45
	v_or3_b32 v51, v3, v2, v52
	v_cndmask_b32_e64 v5, 0, 0x4000, s17
	s_cmp_lg_u32 s44, 0
	v_or3_b32 v50, v5, v4, v51
	v_bcnt_u32_b32 v10, v50, 0
	s_cbranch_scc0 .LBB27_411
; %bb.354:
	v_mov_b32_e32 v2, v10
	v_and_b32_e32 v6, 15, v56
	v_mov_b32_dpp v8, v10 row_shr:1 row_mask:0xf bank_mask:0xf
	v_mov_b32_dpp v7, v11 row_shr:1 row_mask:0xf bank_mask:0xf
	v_mov_b32_e32 v5, v10
	v_mov_b32_e32 v4, v11
	;; [unrolled: 1-line block ×3, first 2 shown]
	s_mov_b32 s17, exec_lo
	v_cmpx_ne_u32_e32 0, v6
; %bb.355:
	v_add_co_u32 v5, s18, v8, v10
	v_add_co_ci_u32_e64 v2, null, 0, 0, s18
	v_add_co_u32 v3, vcc_lo, 0, v5
	v_add_co_ci_u32_e64 v4, null, v7, v2, vcc_lo
	v_mov_b32_e32 v2, v3
	v_mov_b32_e32 v3, v4
; %bb.356:
	s_or_b32 exec_lo, exec_lo, s17
	v_mov_b32_dpp v8, v5 row_shr:2 row_mask:0xf bank_mask:0xf
	v_mov_b32_dpp v7, v4 row_shr:2 row_mask:0xf bank_mask:0xf
	s_mov_b32 s17, exec_lo
	v_cmpx_lt_u32_e32 1, v6
; %bb.357:
	v_add_co_u32 v5, vcc_lo, v2, v8
	v_add_co_ci_u32_e64 v2, null, 0, v3, vcc_lo
	v_add_co_u32 v3, vcc_lo, 0, v5
	v_add_co_ci_u32_e64 v4, null, v7, v2, vcc_lo
	v_mov_b32_e32 v2, v3
	v_mov_b32_e32 v3, v4
; %bb.358:
	s_or_b32 exec_lo, exec_lo, s17
	v_mov_b32_dpp v8, v5 row_shr:4 row_mask:0xf bank_mask:0xf
	v_mov_b32_dpp v7, v4 row_shr:4 row_mask:0xf bank_mask:0xf
	s_mov_b32 s17, exec_lo
	v_cmpx_lt_u32_e32 3, v6
; %bb.359:
	v_add_co_u32 v5, vcc_lo, v2, v8
	v_add_co_ci_u32_e64 v2, null, 0, v3, vcc_lo
	;; [unrolled: 13-line block ×3, first 2 shown]
	v_add_co_u32 v2, vcc_lo, 0, v5
	v_add_co_ci_u32_e64 v3, null, v7, v3, vcc_lo
	v_mov_b32_e32 v4, v3
; %bb.362:
	s_or_b32 exec_lo, exec_lo, s17
	ds_swizzle_b32 v6, v5 offset:swizzle(BROADCAST,32,15)
	ds_swizzle_b32 v4, v4 offset:swizzle(BROADCAST,32,15)
	v_and_b32_e32 v7, 16, v56
	s_mov_b32 s17, exec_lo
	v_cmpx_ne_u32_e32 0, v7
	s_cbranch_execz .LBB27_364
; %bb.363:
	s_waitcnt lgkmcnt(1)
	v_add_co_u32 v5, vcc_lo, v2, v6
	v_add_co_ci_u32_e64 v3, null, 0, v3, vcc_lo
	v_add_co_u32 v2, vcc_lo, 0, v5
	s_waitcnt lgkmcnt(0)
	v_add_co_ci_u32_e64 v3, null, v4, v3, vcc_lo
.LBB27_364:
	s_or_b32 exec_lo, exec_lo, s17
	s_waitcnt lgkmcnt(1)
	v_or_b32_e32 v6, 31, v0
	s_waitcnt lgkmcnt(0)
	v_lshrrev_b32_e32 v4, 5, v0
	s_mov_b32 s17, exec_lo
	v_cmpx_eq_u32_e64 v0, v6
; %bb.365:
	v_lshlrev_b32_e32 v6, 3, v4
	ds_write_b64 v6, v[2:3]
; %bb.366:
	s_or_b32 exec_lo, exec_lo, s17
	s_mov_b32 s17, exec_lo
	s_waitcnt lgkmcnt(0)
	s_barrier
	buffer_gl0_inv
	v_cmpx_gt_u32_e32 8, v0
	s_cbranch_execz .LBB27_374
; %bb.367:
	v_lshlrev_b32_e32 v6, 3, v0
	v_and_b32_e32 v7, 7, v56
	s_mov_b32 s18, exec_lo
	ds_read_b64 v[2:3], v6
	s_waitcnt lgkmcnt(0)
	v_mov_b32_dpp v12, v2 row_shr:1 row_mask:0xf bank_mask:0xf
	v_mov_b32_dpp v9, v3 row_shr:1 row_mask:0xf bank_mask:0xf
	v_mov_b32_e32 v8, v2
	v_cmpx_ne_u32_e32 0, v7
; %bb.368:
	v_add_co_u32 v8, vcc_lo, v2, v12
	v_add_co_ci_u32_e64 v3, null, 0, v3, vcc_lo
	v_add_co_u32 v2, vcc_lo, 0, v8
	v_add_co_ci_u32_e64 v3, null, v9, v3, vcc_lo
; %bb.369:
	s_or_b32 exec_lo, exec_lo, s18
	v_mov_b32_dpp v12, v8 row_shr:2 row_mask:0xf bank_mask:0xf
	v_mov_b32_dpp v9, v3 row_shr:2 row_mask:0xf bank_mask:0xf
	s_mov_b32 s18, exec_lo
	v_cmpx_lt_u32_e32 1, v7
; %bb.370:
	v_add_co_u32 v8, vcc_lo, v2, v12
	v_add_co_ci_u32_e64 v3, null, 0, v3, vcc_lo
	v_add_co_u32 v2, vcc_lo, 0, v8
	v_add_co_ci_u32_e64 v3, null, v9, v3, vcc_lo
; %bb.371:
	s_or_b32 exec_lo, exec_lo, s18
	v_mov_b32_dpp v9, v8 row_shr:4 row_mask:0xf bank_mask:0xf
	v_mov_b32_dpp v8, v3 row_shr:4 row_mask:0xf bank_mask:0xf
	s_mov_b32 s18, exec_lo
	v_cmpx_lt_u32_e32 3, v7
; %bb.372:
	v_add_co_u32 v2, vcc_lo, v2, v9
	v_add_co_ci_u32_e64 v3, null, 0, v3, vcc_lo
	v_add_co_u32 v2, vcc_lo, v2, 0
	v_add_co_ci_u32_e64 v3, null, v3, v8, vcc_lo
; %bb.373:
	s_or_b32 exec_lo, exec_lo, s18
	ds_write_b64 v6, v[2:3]
.LBB27_374:
	s_or_b32 exec_lo, exec_lo, s17
	s_mov_b32 s18, exec_lo
	v_cmp_gt_u32_e32 vcc_lo, 32, v0
	s_waitcnt lgkmcnt(0)
	s_barrier
	buffer_gl0_inv
                                        ; implicit-def: $vgpr12_vgpr13
	v_cmpx_lt_u32_e32 31, v0
	s_cbranch_execz .LBB27_376
; %bb.375:
	v_lshl_add_u32 v2, v4, 3, -8
	ds_read_b64 v[12:13], v2
	s_waitcnt lgkmcnt(0)
	v_add_nc_u32_e32 v5, v5, v12
.LBB27_376:
	s_or_b32 exec_lo, exec_lo, s18
	v_sub_co_u32 v2, s17, v56, 1
	v_cmp_gt_i32_e64 s18, 0, v2
	v_cndmask_b32_e64 v2, v2, v56, s18
	v_lshlrev_b32_e32 v2, 2, v2
	ds_bpermute_b32 v57, v2, v5
	s_and_saveexec_b32 s18, vcc_lo
	s_cbranch_execz .LBB27_416
; %bb.377:
	v_mov_b32_e32 v5, 0
	ds_read_b64 v[2:3], v5 offset:56
	s_and_saveexec_b32 s22, s17
	s_cbranch_execz .LBB27_379
; %bb.378:
	s_add_i32 s24, s44, 32
	s_mov_b32 s25, 0
	v_mov_b32_e32 v4, 1
	s_lshl_b64 s[24:25], s[24:25], 4
	s_add_u32 s24, s40, s24
	s_addc_u32 s25, s41, s25
	v_mov_b32_e32 v6, s24
	v_mov_b32_e32 v7, s25
	s_waitcnt lgkmcnt(0)
	;;#ASMSTART
	global_store_dwordx4 v[6:7], v[2:5] off	
s_waitcnt vmcnt(0)
	;;#ASMEND
.LBB27_379:
	s_or_b32 exec_lo, exec_lo, s22
	v_xad_u32 v14, v56, -1, s44
	s_mov_b32 s23, 0
	v_add_nc_u32_e32 v4, 32, v14
	v_lshlrev_b64 v[6:7], 4, v[4:5]
	v_add_co_u32 v15, vcc_lo, s40, v6
	v_add_co_ci_u32_e64 v16, null, s41, v7, vcc_lo
	;;#ASMSTART
	global_load_dwordx4 v[6:9], v[15:16] off glc dlc	
s_waitcnt vmcnt(0)
	;;#ASMEND
	v_cmp_eq_u16_sdwa s24, v8, v5 src0_sel:BYTE_0 src1_sel:DWORD
	s_and_saveexec_b32 s22, s24
	s_cbranch_execz .LBB27_383
; %bb.380:
	v_mov_b32_e32 v4, 0
.LBB27_381:                             ; =>This Inner Loop Header: Depth=1
	;;#ASMSTART
	global_load_dwordx4 v[6:9], v[15:16] off glc dlc	
s_waitcnt vmcnt(0)
	;;#ASMEND
	v_cmp_ne_u16_sdwa s24, v8, v4 src0_sel:BYTE_0 src1_sel:DWORD
	s_or_b32 s23, s24, s23
	s_andn2_b32 exec_lo, exec_lo, s23
	s_cbranch_execnz .LBB27_381
; %bb.382:
	s_or_b32 exec_lo, exec_lo, s23
.LBB27_383:
	s_or_b32 exec_lo, exec_lo, s22
	v_cmp_ne_u32_e32 vcc_lo, 31, v56
	v_mov_b32_e32 v5, 2
	v_lshlrev_b32_e64 v59, v56, -1
	v_add_co_ci_u32_e64 v4, null, 0, v56, vcc_lo
	v_cmp_eq_u16_sdwa s22, v8, v5 src0_sel:BYTE_0 src1_sel:DWORD
	v_mov_b32_e32 v5, v6
	v_lshlrev_b32_e32 v58, 2, v4
	v_and_or_b32 v4, s22, v59, 0x80000000
	s_mov_b32 s22, exec_lo
	ds_bpermute_b32 v15, v58, v6
	ds_bpermute_b32 v9, v58, v7
	v_ffbl_b32_e32 v4, v4
	v_cmpx_lt_u32_e64 v56, v4
	s_cbranch_execz .LBB27_385
; %bb.384:
	s_waitcnt lgkmcnt(1)
	v_add_co_u32 v5, vcc_lo, v6, v15
	v_add_co_ci_u32_e64 v7, null, 0, v7, vcc_lo
	v_add_co_u32 v6, vcc_lo, 0, v5
	s_waitcnt lgkmcnt(0)
	v_add_co_ci_u32_e64 v7, null, v9, v7, vcc_lo
.LBB27_385:
	s_or_b32 exec_lo, exec_lo, s22
	v_cmp_gt_u32_e32 vcc_lo, 30, v56
	v_add_nc_u32_e32 v61, 2, v56
	s_mov_b32 s22, exec_lo
	s_waitcnt lgkmcnt(0)
	v_cndmask_b32_e64 v9, 0, 2, vcc_lo
	v_add_lshl_u32 v60, v9, v56, 2
	ds_bpermute_b32 v15, v60, v5
	ds_bpermute_b32 v9, v60, v7
	v_cmpx_le_u32_e64 v61, v4
	s_cbranch_execz .LBB27_387
; %bb.386:
	s_waitcnt lgkmcnt(1)
	v_add_co_u32 v5, vcc_lo, v6, v15
	v_add_co_ci_u32_e64 v7, null, 0, v7, vcc_lo
	v_add_co_u32 v6, vcc_lo, 0, v5
	s_waitcnt lgkmcnt(0)
	v_add_co_ci_u32_e64 v7, null, v9, v7, vcc_lo
.LBB27_387:
	s_or_b32 exec_lo, exec_lo, s22
	v_cmp_gt_u32_e32 vcc_lo, 28, v56
	v_add_nc_u32_e32 v63, 4, v56
	s_mov_b32 s22, exec_lo
	s_waitcnt lgkmcnt(0)
	v_cndmask_b32_e64 v9, 0, 4, vcc_lo
	v_add_lshl_u32 v62, v9, v56, 2
	ds_bpermute_b32 v15, v62, v5
	ds_bpermute_b32 v9, v62, v7
	v_cmpx_le_u32_e64 v63, v4
	;; [unrolled: 19-line block ×3, first 2 shown]
	s_cbranch_execz .LBB27_391
; %bb.390:
	s_waitcnt lgkmcnt(1)
	v_add_co_u32 v5, vcc_lo, v6, v15
	v_add_co_ci_u32_e64 v7, null, 0, v7, vcc_lo
	v_add_co_u32 v6, vcc_lo, 0, v5
	s_waitcnt lgkmcnt(0)
	v_add_co_ci_u32_e64 v7, null, v9, v7, vcc_lo
.LBB27_391:
	s_or_b32 exec_lo, exec_lo, s22
	v_lshl_or_b32 v66, v56, 2, 64
	v_add_nc_u32_e32 v67, 16, v56
	s_mov_b32 s22, exec_lo
	s_waitcnt lgkmcnt(0)
	ds_bpermute_b32 v9, v66, v5
	ds_bpermute_b32 v5, v66, v7
	v_cmpx_le_u32_e64 v67, v4
	s_cbranch_execz .LBB27_393
; %bb.392:
	s_waitcnt lgkmcnt(1)
	v_add_co_u32 v4, vcc_lo, v6, v9
	v_add_co_ci_u32_e64 v7, null, 0, v7, vcc_lo
	v_add_co_u32 v6, vcc_lo, v4, 0
	s_waitcnt lgkmcnt(0)
	v_add_co_ci_u32_e64 v7, null, v7, v5, vcc_lo
.LBB27_393:
	s_or_b32 exec_lo, exec_lo, s22
	v_mov_b32_e32 v15, 0
	v_mov_b32_e32 v68, 2
	s_branch .LBB27_396
.LBB27_394:                             ;   in Loop: Header=BB27_396 Depth=1
	s_or_b32 exec_lo, exec_lo, s22
	v_add_co_u32 v6, vcc_lo, v6, v4
	v_subrev_nc_u32_e32 v14, 32, v14
	v_add_co_ci_u32_e64 v7, null, v7, v5, vcc_lo
	s_mov_b32 s22, 0
.LBB27_395:                             ;   in Loop: Header=BB27_396 Depth=1
	s_and_b32 vcc_lo, exec_lo, s22
	s_cbranch_vccnz .LBB27_412
.LBB27_396:                             ; =>This Loop Header: Depth=1
                                        ;     Child Loop BB27_399 Depth 2
	v_cmp_ne_u16_sdwa s22, v8, v68 src0_sel:BYTE_0 src1_sel:DWORD
	s_waitcnt lgkmcnt(0)
	v_mov_b32_e32 v4, v6
	v_mov_b32_e32 v5, v7
                                        ; implicit-def: $vgpr6_vgpr7
	s_cmp_lg_u32 s22, exec_lo
	s_mov_b32 s22, -1
	s_cbranch_scc1 .LBB27_395
; %bb.397:                              ;   in Loop: Header=BB27_396 Depth=1
	v_lshlrev_b64 v[6:7], 4, v[14:15]
	v_add_co_u32 v16, vcc_lo, s40, v6
	v_add_co_ci_u32_e64 v17, null, s41, v7, vcc_lo
	;;#ASMSTART
	global_load_dwordx4 v[6:9], v[16:17] off glc dlc	
s_waitcnt vmcnt(0)
	;;#ASMEND
	v_cmp_eq_u16_sdwa s23, v8, v15 src0_sel:BYTE_0 src1_sel:DWORD
	s_and_saveexec_b32 s22, s23
	s_cbranch_execz .LBB27_401
; %bb.398:                              ;   in Loop: Header=BB27_396 Depth=1
	s_mov_b32 s23, 0
.LBB27_399:                             ;   Parent Loop BB27_396 Depth=1
                                        ; =>  This Inner Loop Header: Depth=2
	;;#ASMSTART
	global_load_dwordx4 v[6:9], v[16:17] off glc dlc	
s_waitcnt vmcnt(0)
	;;#ASMEND
	v_cmp_ne_u16_sdwa s24, v8, v15 src0_sel:BYTE_0 src1_sel:DWORD
	s_or_b32 s23, s24, s23
	s_andn2_b32 exec_lo, exec_lo, s23
	s_cbranch_execnz .LBB27_399
; %bb.400:                              ;   in Loop: Header=BB27_396 Depth=1
	s_or_b32 exec_lo, exec_lo, s23
.LBB27_401:                             ;   in Loop: Header=BB27_396 Depth=1
	s_or_b32 exec_lo, exec_lo, s22
	ds_bpermute_b32 v69, v58, v6
	ds_bpermute_b32 v17, v58, v7
	v_cmp_eq_u16_sdwa s22, v8, v68 src0_sel:BYTE_0 src1_sel:DWORD
	v_mov_b32_e32 v16, v6
	v_and_or_b32 v9, s22, v59, 0x80000000
	s_mov_b32 s22, exec_lo
	v_ffbl_b32_e32 v9, v9
	v_cmpx_lt_u32_e64 v56, v9
	s_cbranch_execz .LBB27_403
; %bb.402:                              ;   in Loop: Header=BB27_396 Depth=1
	s_waitcnt lgkmcnt(1)
	v_add_co_u32 v16, vcc_lo, v6, v69
	v_add_co_ci_u32_e64 v7, null, 0, v7, vcc_lo
	v_add_co_u32 v6, vcc_lo, 0, v16
	s_waitcnt lgkmcnt(0)
	v_add_co_ci_u32_e64 v7, null, v17, v7, vcc_lo
.LBB27_403:                             ;   in Loop: Header=BB27_396 Depth=1
	s_or_b32 exec_lo, exec_lo, s22
	s_waitcnt lgkmcnt(1)
	ds_bpermute_b32 v69, v60, v16
	s_waitcnt lgkmcnt(1)
	ds_bpermute_b32 v17, v60, v7
	s_mov_b32 s22, exec_lo
	v_cmpx_le_u32_e64 v61, v9
	s_cbranch_execz .LBB27_405
; %bb.404:                              ;   in Loop: Header=BB27_396 Depth=1
	s_waitcnt lgkmcnt(1)
	v_add_co_u32 v16, vcc_lo, v6, v69
	v_add_co_ci_u32_e64 v7, null, 0, v7, vcc_lo
	v_add_co_u32 v6, vcc_lo, 0, v16
	s_waitcnt lgkmcnt(0)
	v_add_co_ci_u32_e64 v7, null, v17, v7, vcc_lo
.LBB27_405:                             ;   in Loop: Header=BB27_396 Depth=1
	s_or_b32 exec_lo, exec_lo, s22
	s_waitcnt lgkmcnt(1)
	ds_bpermute_b32 v69, v62, v16
	s_waitcnt lgkmcnt(1)
	ds_bpermute_b32 v17, v62, v7
	s_mov_b32 s22, exec_lo
	v_cmpx_le_u32_e64 v63, v9
	;; [unrolled: 16-line block ×3, first 2 shown]
	s_cbranch_execz .LBB27_409
; %bb.408:                              ;   in Loop: Header=BB27_396 Depth=1
	s_waitcnt lgkmcnt(1)
	v_add_co_u32 v16, vcc_lo, v6, v69
	v_add_co_ci_u32_e64 v7, null, 0, v7, vcc_lo
	v_add_co_u32 v6, vcc_lo, 0, v16
	s_waitcnt lgkmcnt(0)
	v_add_co_ci_u32_e64 v7, null, v17, v7, vcc_lo
.LBB27_409:                             ;   in Loop: Header=BB27_396 Depth=1
	s_or_b32 exec_lo, exec_lo, s22
	s_waitcnt lgkmcnt(0)
	ds_bpermute_b32 v17, v66, v16
	ds_bpermute_b32 v16, v66, v7
	s_mov_b32 s22, exec_lo
	v_cmpx_le_u32_e64 v67, v9
	s_cbranch_execz .LBB27_394
; %bb.410:                              ;   in Loop: Header=BB27_396 Depth=1
	s_waitcnt lgkmcnt(1)
	v_add_co_u32 v6, vcc_lo, v6, v17
	v_add_co_ci_u32_e64 v7, null, 0, v7, vcc_lo
	v_add_co_u32 v6, vcc_lo, v6, 0
	s_waitcnt lgkmcnt(0)
	v_add_co_ci_u32_e64 v7, null, v7, v16, vcc_lo
	s_branch .LBB27_394
.LBB27_411:
                                        ; implicit-def: $vgpr4_vgpr5
                                        ; implicit-def: $vgpr6_vgpr7
	s_cbranch_execnz .LBB27_417
	s_branch .LBB27_442
.LBB27_412:
	s_and_saveexec_b32 s22, s17
	s_cbranch_execz .LBB27_414
; %bb.413:
	s_add_i32 s24, s44, 32
	s_mov_b32 s25, 0
	v_add_co_u32 v6, vcc_lo, v4, v2
	s_lshl_b64 s[24:25], s[24:25], 4
	v_mov_b32_e32 v9, 0
	s_add_u32 s24, s40, s24
	s_addc_u32 s25, s41, s25
	v_mov_b32_e32 v14, s24
	v_add_co_ci_u32_e64 v7, null, v5, v3, vcc_lo
	v_mov_b32_e32 v8, 2
	v_mov_b32_e32 v15, s25
	;;#ASMSTART
	global_store_dwordx4 v[14:15], v[6:9] off	
s_waitcnt vmcnt(0)
	;;#ASMEND
	ds_write_b128 v9, v[2:5] offset:64
.LBB27_414:
	s_or_b32 exec_lo, exec_lo, s22
	s_and_b32 exec_lo, exec_lo, s0
; %bb.415:
	v_mov_b32_e32 v2, 0
	ds_write_b64 v2, v[4:5] offset:56
.LBB27_416:
	s_or_b32 exec_lo, exec_lo, s18
	v_mov_b32_e32 v2, 0
	s_waitcnt lgkmcnt(0)
	s_barrier
	buffer_gl0_inv
	v_cndmask_b32_e64 v8, 0, v13, s17
	ds_read_b64 v[6:7], v2 offset:56
	s_waitcnt lgkmcnt(0)
	s_barrier
	buffer_gl0_inv
	ds_read_b128 v[2:5], v2 offset:64
	s_waitcnt lgkmcnt(0)
	v_cndmask_b32_e64 v3, v57, v12, s17
	v_cndmask_b32_e64 v8, v8, 0, s0
	;; [unrolled: 1-line block ×3, first 2 shown]
	v_add_co_u32 v6, vcc_lo, v6, v3
	v_add_co_ci_u32_e64 v3, null, v7, v8, vcc_lo
	s_branch .LBB27_442
.LBB27_417:
	v_mov_b32_e32 v4, 0
	v_mov_b32_e32 v2, v10
	v_and_b32_e32 v5, 15, v56
	v_mov_b32_dpp v7, v10 row_shr:1 row_mask:0xf bank_mask:0xf
	v_mov_b32_e32 v3, v11
	v_mov_b32_dpp v6, v4 row_shr:1 row_mask:0xf bank_mask:0xf
	s_mov_b32 s17, exec_lo
	v_cmpx_ne_u32_e32 0, v5
; %bb.418:
	v_add_co_u32 v10, s18, v7, v10
	v_add_co_ci_u32_e64 v2, null, 0, 0, s18
	v_add_co_u32 v3, vcc_lo, 0, v10
	v_add_co_ci_u32_e64 v4, null, v6, v2, vcc_lo
	v_mov_b32_e32 v2, v3
	v_mov_b32_e32 v3, v4
; %bb.419:
	s_or_b32 exec_lo, exec_lo, s17
	v_mov_b32_dpp v7, v10 row_shr:2 row_mask:0xf bank_mask:0xf
	v_mov_b32_dpp v6, v4 row_shr:2 row_mask:0xf bank_mask:0xf
	s_mov_b32 s17, exec_lo
	v_cmpx_lt_u32_e32 1, v5
; %bb.420:
	v_add_co_u32 v10, vcc_lo, v2, v7
	v_add_co_ci_u32_e64 v2, null, 0, v3, vcc_lo
	v_add_co_u32 v3, vcc_lo, 0, v10
	v_add_co_ci_u32_e64 v4, null, v6, v2, vcc_lo
	v_mov_b32_e32 v2, v3
	v_mov_b32_e32 v3, v4
; %bb.421:
	s_or_b32 exec_lo, exec_lo, s17
	v_mov_b32_dpp v7, v10 row_shr:4 row_mask:0xf bank_mask:0xf
	v_mov_b32_dpp v6, v4 row_shr:4 row_mask:0xf bank_mask:0xf
	s_mov_b32 s17, exec_lo
	v_cmpx_lt_u32_e32 3, v5
; %bb.422:
	v_add_co_u32 v10, vcc_lo, v2, v7
	v_add_co_ci_u32_e64 v2, null, 0, v3, vcc_lo
	;; [unrolled: 13-line block ×3, first 2 shown]
	v_add_co_u32 v2, vcc_lo, 0, v10
	v_add_co_ci_u32_e64 v3, null, v6, v3, vcc_lo
	v_mov_b32_e32 v4, v3
; %bb.425:
	s_or_b32 exec_lo, exec_lo, s17
	ds_swizzle_b32 v5, v10 offset:swizzle(BROADCAST,32,15)
	ds_swizzle_b32 v4, v4 offset:swizzle(BROADCAST,32,15)
	v_and_b32_e32 v6, 16, v56
	s_mov_b32 s17, exec_lo
	v_cmpx_ne_u32_e32 0, v6
	s_cbranch_execz .LBB27_427
; %bb.426:
	s_waitcnt lgkmcnt(1)
	v_add_co_u32 v10, vcc_lo, v2, v5
	v_add_co_ci_u32_e64 v3, null, 0, v3, vcc_lo
	v_add_co_u32 v2, vcc_lo, 0, v10
	s_waitcnt lgkmcnt(0)
	v_add_co_ci_u32_e64 v3, null, v4, v3, vcc_lo
.LBB27_427:
	s_or_b32 exec_lo, exec_lo, s17
	s_waitcnt lgkmcnt(0)
	v_or_b32_e32 v4, 31, v0
	v_lshrrev_b32_e32 v6, 5, v0
	s_mov_b32 s17, exec_lo
	v_cmpx_eq_u32_e64 v0, v4
; %bb.428:
	v_lshlrev_b32_e32 v4, 3, v6
	ds_write_b64 v4, v[2:3]
; %bb.429:
	s_or_b32 exec_lo, exec_lo, s17
	s_mov_b32 s17, exec_lo
	s_waitcnt lgkmcnt(0)
	s_barrier
	buffer_gl0_inv
	v_cmpx_gt_u32_e32 8, v0
	s_cbranch_execz .LBB27_437
; %bb.430:
	v_lshlrev_b32_e32 v4, 3, v0
	v_and_b32_e32 v5, 7, v56
	s_mov_b32 s18, exec_lo
	ds_read_b64 v[2:3], v4
	s_waitcnt lgkmcnt(0)
	v_mov_b32_dpp v9, v2 row_shr:1 row_mask:0xf bank_mask:0xf
	v_mov_b32_dpp v8, v3 row_shr:1 row_mask:0xf bank_mask:0xf
	v_mov_b32_e32 v7, v2
	v_cmpx_ne_u32_e32 0, v5
; %bb.431:
	v_add_co_u32 v7, vcc_lo, v2, v9
	v_add_co_ci_u32_e64 v3, null, 0, v3, vcc_lo
	v_add_co_u32 v2, vcc_lo, 0, v7
	v_add_co_ci_u32_e64 v3, null, v8, v3, vcc_lo
; %bb.432:
	s_or_b32 exec_lo, exec_lo, s18
	v_mov_b32_dpp v9, v7 row_shr:2 row_mask:0xf bank_mask:0xf
	v_mov_b32_dpp v8, v3 row_shr:2 row_mask:0xf bank_mask:0xf
	s_mov_b32 s18, exec_lo
	v_cmpx_lt_u32_e32 1, v5
; %bb.433:
	v_add_co_u32 v7, vcc_lo, v2, v9
	v_add_co_ci_u32_e64 v3, null, 0, v3, vcc_lo
	v_add_co_u32 v2, vcc_lo, 0, v7
	v_add_co_ci_u32_e64 v3, null, v8, v3, vcc_lo
; %bb.434:
	s_or_b32 exec_lo, exec_lo, s18
	v_mov_b32_dpp v8, v7 row_shr:4 row_mask:0xf bank_mask:0xf
	v_mov_b32_dpp v7, v3 row_shr:4 row_mask:0xf bank_mask:0xf
	s_mov_b32 s18, exec_lo
	v_cmpx_lt_u32_e32 3, v5
; %bb.435:
	v_add_co_u32 v2, vcc_lo, v2, v8
	v_add_co_ci_u32_e64 v3, null, 0, v3, vcc_lo
	v_add_co_u32 v2, vcc_lo, v2, 0
	v_add_co_ci_u32_e64 v3, null, v3, v7, vcc_lo
; %bb.436:
	s_or_b32 exec_lo, exec_lo, s18
	ds_write_b64 v4, v[2:3]
.LBB27_437:
	s_or_b32 exec_lo, exec_lo, s17
	s_mov_b32 s17, exec_lo
	v_mov_b32_e32 v4, 0
	v_mov_b32_e32 v5, 0
	s_waitcnt lgkmcnt(0)
	s_barrier
	buffer_gl0_inv
	v_cmpx_lt_u32_e32 31, v0
; %bb.438:
	v_lshl_add_u32 v2, v6, 3, -8
	ds_read_b64 v[4:5], v2
; %bb.439:
	s_or_b32 exec_lo, exec_lo, s17
	v_sub_co_u32 v2, vcc_lo, v56, 1
	s_waitcnt lgkmcnt(0)
	v_add_nc_u32_e32 v3, v10, v4
	v_mov_b32_e32 v5, 0
	v_cmp_gt_i32_e64 s17, 0, v2
	v_cndmask_b32_e64 v2, v2, v56, s17
	v_lshlrev_b32_e32 v2, 2, v2
	ds_bpermute_b32 v6, v2, v3
	ds_read_b64 v[2:3], v5 offset:56
	s_waitcnt lgkmcnt(1)
	v_cndmask_b32_e32 v6, v6, v4, vcc_lo
	s_and_saveexec_b32 s17, s0
	s_cbranch_execz .LBB27_441
; %bb.440:
	s_add_u32 s22, s40, 0x200
	s_addc_u32 s23, s41, 0
	v_mov_b32_e32 v7, s22
	v_mov_b32_e32 v4, 2
	;; [unrolled: 1-line block ×3, first 2 shown]
	s_waitcnt lgkmcnt(0)
	;;#ASMSTART
	global_store_dwordx4 v[7:8], v[2:5] off	
s_waitcnt vmcnt(0)
	;;#ASMEND
.LBB27_441:
	s_or_b32 exec_lo, exec_lo, s17
	v_mov_b32_e32 v4, 0
	v_mov_b32_e32 v5, 0
.LBB27_442:
	s_waitcnt lgkmcnt(0)
	v_sub_nc_u32_e32 v3, v6, v4
	s_barrier
	buffer_gl0_inv
	s_and_saveexec_b32 s0, s38
	s_cbranch_execnz .LBB27_473
; %bb.443:
	s_or_b32 exec_lo, exec_lo, s0
	s_and_saveexec_b32 s0, s37
	s_cbranch_execnz .LBB27_474
.LBB27_444:
	s_or_b32 exec_lo, exec_lo, s0
	s_and_saveexec_b32 s0, s36
	s_cbranch_execnz .LBB27_475
.LBB27_445:
	s_or_b32 exec_lo, exec_lo, s0
	s_and_saveexec_b32 s0, s20
	s_cbranch_execnz .LBB27_476
.LBB27_446:
	s_or_b32 exec_lo, exec_lo, s0
	s_and_saveexec_b32 s0, s21
	s_cbranch_execnz .LBB27_477
.LBB27_447:
	s_or_b32 exec_lo, exec_lo, s0
	s_and_saveexec_b32 s0, s19
	s_cbranch_execz .LBB27_449
.LBB27_448:
	v_cndmask_b32_e64 v6, v29, v28, s6
	v_lshlrev_b32_e32 v7, 2, v3
	v_add_nc_u32_e32 v3, 1, v3
	ds_write_b32 v7, v6 offset:1024
.LBB27_449:
	s_or_b32 exec_lo, exec_lo, s0
	v_and_b32_e32 v6, 64, v55
	s_mov_b32 s0, exec_lo
	v_cmpx_ne_u32_e32 0, v6
	s_cbranch_execz .LBB27_451
; %bb.450:
	v_cndmask_b32_e64 v6, v31, v30, s7
	v_lshlrev_b32_e32 v7, 2, v3
	v_add_nc_u32_e32 v3, 1, v3
	ds_write_b32 v7, v6 offset:1024
.LBB27_451:
	s_or_b32 exec_lo, exec_lo, s0
	v_and_b32_e32 v6, 0x80, v54
	s_mov_b32 s0, exec_lo
	v_cmpx_ne_u32_e32 0, v6
	s_cbranch_execz .LBB27_453
; %bb.452:
	v_cndmask_b32_e64 v6, v33, v32, s8
	v_lshlrev_b32_e32 v7, 2, v3
	v_add_nc_u32_e32 v3, 1, v3
	ds_write_b32 v7, v6 offset:1024
.LBB27_453:
	;; [unrolled: 11-line block ×9, first 2 shown]
	s_or_b32 exec_lo, exec_lo, s0
	v_and_b32_e32 v6, 0x8000, v50
	s_mov_b32 s0, exec_lo
	v_cmpx_ne_u32_e32 0, v6
; %bb.468:
	v_cndmask_b32_e64 v6, v49, v48, s16
	v_lshlrev_b32_e32 v3, 2, v3
	ds_write_b32 v3, v6 offset:1024
; %bb.469:
	s_or_b32 exec_lo, exec_lo, s0
	s_waitcnt lgkmcnt(0)
	s_barrier
	buffer_gl0_inv
	s_mov_b32 s0, exec_lo
	v_cmpx_lt_i32_e64 v0, v2
	s_cbranch_execz .LBB27_472
; %bb.470:
	v_lshlrev_b64 v[3:4], 2, v[4:5]
	v_lshlrev_b64 v[5:6], 2, v[0:1]
	v_lshl_or_b32 v1, v0, 2, 0x400
	s_mov_b32 s1, 0
	v_add_co_u32 v3, vcc_lo, s42, v3
	v_add_co_ci_u32_e64 v4, null, s43, v4, vcc_lo
	v_add_co_u32 v3, vcc_lo, v3, v5
	v_add_co_ci_u32_e64 v4, null, v4, v6, vcc_lo
	.p2align	6
.LBB27_471:                             ; =>This Inner Loop Header: Depth=1
	ds_read_b32 v5, v1
	v_add_nc_u32_e32 v0, 0x100, v0
	v_add_nc_u32_e32 v1, 0x400, v1
	v_cmp_ge_i32_e32 vcc_lo, v0, v2
	s_or_b32 s1, vcc_lo, s1
	s_waitcnt lgkmcnt(0)
	global_store_dword v[3:4], v5, off
	v_add_co_u32 v3, s0, 0x400, v3
	v_add_co_ci_u32_e64 v4, null, 0, v4, s0
	s_andn2_b32 exec_lo, exec_lo, s1
	s_cbranch_execnz .LBB27_471
.LBB27_472:
	s_endpgm
.LBB27_473:
	v_add_nc_u32_e32 v6, 1, v3
	v_cndmask_b32_e64 v7, v19, v18, s1
	v_lshlrev_b32_e32 v8, 2, v3
	v_mov_b32_e32 v3, v6
	ds_write_b32 v8, v7 offset:1024
	s_or_b32 exec_lo, exec_lo, s0
	s_and_saveexec_b32 s0, s37
	s_cbranch_execz .LBB27_444
.LBB27_474:
	v_cndmask_b32_e64 v6, v21, v20, s2
	v_lshlrev_b32_e32 v7, 2, v3
	v_add_nc_u32_e32 v3, 1, v3
	ds_write_b32 v7, v6 offset:1024
	s_or_b32 exec_lo, exec_lo, s0
	s_and_saveexec_b32 s0, s36
	s_cbranch_execz .LBB27_445
.LBB27_475:
	v_cndmask_b32_e64 v6, v23, v22, s3
	v_lshlrev_b32_e32 v7, 2, v3
	v_add_nc_u32_e32 v3, 1, v3
	ds_write_b32 v7, v6 offset:1024
	s_or_b32 exec_lo, exec_lo, s0
	s_and_saveexec_b32 s0, s20
	s_cbranch_execz .LBB27_446
.LBB27_476:
	v_cndmask_b32_e64 v6, v25, v24, s4
	v_lshlrev_b32_e32 v7, 2, v3
	v_add_nc_u32_e32 v3, 1, v3
	ds_write_b32 v7, v6 offset:1024
	s_or_b32 exec_lo, exec_lo, s0
	s_and_saveexec_b32 s0, s21
	s_cbranch_execz .LBB27_447
.LBB27_477:
	v_cndmask_b32_e64 v6, v27, v26, s5
	v_lshlrev_b32_e32 v7, 2, v3
	v_add_nc_u32_e32 v3, 1, v3
	ds_write_b32 v7, v6 offset:1024
	s_or_b32 exec_lo, exec_lo, s0
	s_and_saveexec_b32 s0, s19
	s_cbranch_execnz .LBB27_448
	s_branch .LBB27_449
	.section	.rodata,"a",@progbits
	.p2align	6, 0x0
	.amdhsa_kernel _ZN6thrust23THRUST_200600_302600_NS11hip_rocprim16__set_operations22lookback_set_op_kernelIN7rocprim17ROCPRIM_400000_NS13kernel_configILj256ELj16ELj4294967295EEELb0ENS0_6detail15normal_iteratorINS0_10device_ptrIKiEEEESD_PiSE_lNS9_INSA_IiEEEESE_NS0_4lessIiEENS2_31serial_set_symmetric_differenceENS5_6detail19lookback_scan_stateIlLb0ELb1EEEEEvT1_T2_T3_T4_T6_T7_T8_T9_PNS0_4pairIT5_SW_EEPSW_T10_NSK_16ordered_block_idIjEE
		.amdhsa_group_segment_fixed_size 36868
		.amdhsa_private_segment_fixed_size 0
		.amdhsa_kernarg_size 344
		.amdhsa_user_sgpr_count 6
		.amdhsa_user_sgpr_private_segment_buffer 1
		.amdhsa_user_sgpr_dispatch_ptr 0
		.amdhsa_user_sgpr_queue_ptr 0
		.amdhsa_user_sgpr_kernarg_segment_ptr 1
		.amdhsa_user_sgpr_dispatch_id 0
		.amdhsa_user_sgpr_flat_scratch_init 0
		.amdhsa_user_sgpr_private_segment_size 0
		.amdhsa_wavefront_size32 1
		.amdhsa_uses_dynamic_stack 0
		.amdhsa_system_sgpr_private_segment_wavefront_offset 0
		.amdhsa_system_sgpr_workgroup_id_x 1
		.amdhsa_system_sgpr_workgroup_id_y 0
		.amdhsa_system_sgpr_workgroup_id_z 0
		.amdhsa_system_sgpr_workgroup_info 0
		.amdhsa_system_vgpr_workitem_id 2
		.amdhsa_next_free_vgpr 145
		.amdhsa_next_free_sgpr 58
		.amdhsa_reserve_vcc 1
		.amdhsa_reserve_flat_scratch 0
		.amdhsa_float_round_mode_32 0
		.amdhsa_float_round_mode_16_64 0
		.amdhsa_float_denorm_mode_32 3
		.amdhsa_float_denorm_mode_16_64 3
		.amdhsa_dx10_clamp 1
		.amdhsa_ieee_mode 1
		.amdhsa_fp16_overflow 0
		.amdhsa_workgroup_processor_mode 1
		.amdhsa_memory_ordered 1
		.amdhsa_forward_progress 1
		.amdhsa_shared_vgpr_count 0
		.amdhsa_exception_fp_ieee_invalid_op 0
		.amdhsa_exception_fp_denorm_src 0
		.amdhsa_exception_fp_ieee_div_zero 0
		.amdhsa_exception_fp_ieee_overflow 0
		.amdhsa_exception_fp_ieee_underflow 0
		.amdhsa_exception_fp_ieee_inexact 0
		.amdhsa_exception_int_div_zero 0
	.end_amdhsa_kernel
	.section	.text._ZN6thrust23THRUST_200600_302600_NS11hip_rocprim16__set_operations22lookback_set_op_kernelIN7rocprim17ROCPRIM_400000_NS13kernel_configILj256ELj16ELj4294967295EEELb0ENS0_6detail15normal_iteratorINS0_10device_ptrIKiEEEESD_PiSE_lNS9_INSA_IiEEEESE_NS0_4lessIiEENS2_31serial_set_symmetric_differenceENS5_6detail19lookback_scan_stateIlLb0ELb1EEEEEvT1_T2_T3_T4_T6_T7_T8_T9_PNS0_4pairIT5_SW_EEPSW_T10_NSK_16ordered_block_idIjEE,"axG",@progbits,_ZN6thrust23THRUST_200600_302600_NS11hip_rocprim16__set_operations22lookback_set_op_kernelIN7rocprim17ROCPRIM_400000_NS13kernel_configILj256ELj16ELj4294967295EEELb0ENS0_6detail15normal_iteratorINS0_10device_ptrIKiEEEESD_PiSE_lNS9_INSA_IiEEEESE_NS0_4lessIiEENS2_31serial_set_symmetric_differenceENS5_6detail19lookback_scan_stateIlLb0ELb1EEEEEvT1_T2_T3_T4_T6_T7_T8_T9_PNS0_4pairIT5_SW_EEPSW_T10_NSK_16ordered_block_idIjEE,comdat
.Lfunc_end27:
	.size	_ZN6thrust23THRUST_200600_302600_NS11hip_rocprim16__set_operations22lookback_set_op_kernelIN7rocprim17ROCPRIM_400000_NS13kernel_configILj256ELj16ELj4294967295EEELb0ENS0_6detail15normal_iteratorINS0_10device_ptrIKiEEEESD_PiSE_lNS9_INSA_IiEEEESE_NS0_4lessIiEENS2_31serial_set_symmetric_differenceENS5_6detail19lookback_scan_stateIlLb0ELb1EEEEEvT1_T2_T3_T4_T6_T7_T8_T9_PNS0_4pairIT5_SW_EEPSW_T10_NSK_16ordered_block_idIjEE, .Lfunc_end27-_ZN6thrust23THRUST_200600_302600_NS11hip_rocprim16__set_operations22lookback_set_op_kernelIN7rocprim17ROCPRIM_400000_NS13kernel_configILj256ELj16ELj4294967295EEELb0ENS0_6detail15normal_iteratorINS0_10device_ptrIKiEEEESD_PiSE_lNS9_INSA_IiEEEESE_NS0_4lessIiEENS2_31serial_set_symmetric_differenceENS5_6detail19lookback_scan_stateIlLb0ELb1EEEEEvT1_T2_T3_T4_T6_T7_T8_T9_PNS0_4pairIT5_SW_EEPSW_T10_NSK_16ordered_block_idIjEE
                                        ; -- End function
	.set _ZN6thrust23THRUST_200600_302600_NS11hip_rocprim16__set_operations22lookback_set_op_kernelIN7rocprim17ROCPRIM_400000_NS13kernel_configILj256ELj16ELj4294967295EEELb0ENS0_6detail15normal_iteratorINS0_10device_ptrIKiEEEESD_PiSE_lNS9_INSA_IiEEEESE_NS0_4lessIiEENS2_31serial_set_symmetric_differenceENS5_6detail19lookback_scan_stateIlLb0ELb1EEEEEvT1_T2_T3_T4_T6_T7_T8_T9_PNS0_4pairIT5_SW_EEPSW_T10_NSK_16ordered_block_idIjEE.num_vgpr, 75
	.set _ZN6thrust23THRUST_200600_302600_NS11hip_rocprim16__set_operations22lookback_set_op_kernelIN7rocprim17ROCPRIM_400000_NS13kernel_configILj256ELj16ELj4294967295EEELb0ENS0_6detail15normal_iteratorINS0_10device_ptrIKiEEEESD_PiSE_lNS9_INSA_IiEEEESE_NS0_4lessIiEENS2_31serial_set_symmetric_differenceENS5_6detail19lookback_scan_stateIlLb0ELb1EEEEEvT1_T2_T3_T4_T6_T7_T8_T9_PNS0_4pairIT5_SW_EEPSW_T10_NSK_16ordered_block_idIjEE.num_agpr, 0
	.set _ZN6thrust23THRUST_200600_302600_NS11hip_rocprim16__set_operations22lookback_set_op_kernelIN7rocprim17ROCPRIM_400000_NS13kernel_configILj256ELj16ELj4294967295EEELb0ENS0_6detail15normal_iteratorINS0_10device_ptrIKiEEEESD_PiSE_lNS9_INSA_IiEEEESE_NS0_4lessIiEENS2_31serial_set_symmetric_differenceENS5_6detail19lookback_scan_stateIlLb0ELb1EEEEEvT1_T2_T3_T4_T6_T7_T8_T9_PNS0_4pairIT5_SW_EEPSW_T10_NSK_16ordered_block_idIjEE.numbered_sgpr, 58
	.set _ZN6thrust23THRUST_200600_302600_NS11hip_rocprim16__set_operations22lookback_set_op_kernelIN7rocprim17ROCPRIM_400000_NS13kernel_configILj256ELj16ELj4294967295EEELb0ENS0_6detail15normal_iteratorINS0_10device_ptrIKiEEEESD_PiSE_lNS9_INSA_IiEEEESE_NS0_4lessIiEENS2_31serial_set_symmetric_differenceENS5_6detail19lookback_scan_stateIlLb0ELb1EEEEEvT1_T2_T3_T4_T6_T7_T8_T9_PNS0_4pairIT5_SW_EEPSW_T10_NSK_16ordered_block_idIjEE.num_named_barrier, 0
	.set _ZN6thrust23THRUST_200600_302600_NS11hip_rocprim16__set_operations22lookback_set_op_kernelIN7rocprim17ROCPRIM_400000_NS13kernel_configILj256ELj16ELj4294967295EEELb0ENS0_6detail15normal_iteratorINS0_10device_ptrIKiEEEESD_PiSE_lNS9_INSA_IiEEEESE_NS0_4lessIiEENS2_31serial_set_symmetric_differenceENS5_6detail19lookback_scan_stateIlLb0ELb1EEEEEvT1_T2_T3_T4_T6_T7_T8_T9_PNS0_4pairIT5_SW_EEPSW_T10_NSK_16ordered_block_idIjEE.private_seg_size, 0
	.set _ZN6thrust23THRUST_200600_302600_NS11hip_rocprim16__set_operations22lookback_set_op_kernelIN7rocprim17ROCPRIM_400000_NS13kernel_configILj256ELj16ELj4294967295EEELb0ENS0_6detail15normal_iteratorINS0_10device_ptrIKiEEEESD_PiSE_lNS9_INSA_IiEEEESE_NS0_4lessIiEENS2_31serial_set_symmetric_differenceENS5_6detail19lookback_scan_stateIlLb0ELb1EEEEEvT1_T2_T3_T4_T6_T7_T8_T9_PNS0_4pairIT5_SW_EEPSW_T10_NSK_16ordered_block_idIjEE.uses_vcc, 1
	.set _ZN6thrust23THRUST_200600_302600_NS11hip_rocprim16__set_operations22lookback_set_op_kernelIN7rocprim17ROCPRIM_400000_NS13kernel_configILj256ELj16ELj4294967295EEELb0ENS0_6detail15normal_iteratorINS0_10device_ptrIKiEEEESD_PiSE_lNS9_INSA_IiEEEESE_NS0_4lessIiEENS2_31serial_set_symmetric_differenceENS5_6detail19lookback_scan_stateIlLb0ELb1EEEEEvT1_T2_T3_T4_T6_T7_T8_T9_PNS0_4pairIT5_SW_EEPSW_T10_NSK_16ordered_block_idIjEE.uses_flat_scratch, 0
	.set _ZN6thrust23THRUST_200600_302600_NS11hip_rocprim16__set_operations22lookback_set_op_kernelIN7rocprim17ROCPRIM_400000_NS13kernel_configILj256ELj16ELj4294967295EEELb0ENS0_6detail15normal_iteratorINS0_10device_ptrIKiEEEESD_PiSE_lNS9_INSA_IiEEEESE_NS0_4lessIiEENS2_31serial_set_symmetric_differenceENS5_6detail19lookback_scan_stateIlLb0ELb1EEEEEvT1_T2_T3_T4_T6_T7_T8_T9_PNS0_4pairIT5_SW_EEPSW_T10_NSK_16ordered_block_idIjEE.has_dyn_sized_stack, 0
	.set _ZN6thrust23THRUST_200600_302600_NS11hip_rocprim16__set_operations22lookback_set_op_kernelIN7rocprim17ROCPRIM_400000_NS13kernel_configILj256ELj16ELj4294967295EEELb0ENS0_6detail15normal_iteratorINS0_10device_ptrIKiEEEESD_PiSE_lNS9_INSA_IiEEEESE_NS0_4lessIiEENS2_31serial_set_symmetric_differenceENS5_6detail19lookback_scan_stateIlLb0ELb1EEEEEvT1_T2_T3_T4_T6_T7_T8_T9_PNS0_4pairIT5_SW_EEPSW_T10_NSK_16ordered_block_idIjEE.has_recursion, 0
	.set _ZN6thrust23THRUST_200600_302600_NS11hip_rocprim16__set_operations22lookback_set_op_kernelIN7rocprim17ROCPRIM_400000_NS13kernel_configILj256ELj16ELj4294967295EEELb0ENS0_6detail15normal_iteratorINS0_10device_ptrIKiEEEESD_PiSE_lNS9_INSA_IiEEEESE_NS0_4lessIiEENS2_31serial_set_symmetric_differenceENS5_6detail19lookback_scan_stateIlLb0ELb1EEEEEvT1_T2_T3_T4_T6_T7_T8_T9_PNS0_4pairIT5_SW_EEPSW_T10_NSK_16ordered_block_idIjEE.has_indirect_call, 0
	.section	.AMDGPU.csdata,"",@progbits
; Kernel info:
; codeLenInByte = 21384
; TotalNumSgprs: 60
; NumVgprs: 75
; ScratchSize: 0
; MemoryBound: 0
; FloatMode: 240
; IeeeMode: 1
; LDSByteSize: 36868 bytes/workgroup (compile time only)
; SGPRBlocks: 0
; VGPRBlocks: 18
; NumSGPRsForWavesPerEU: 60
; NumVGPRsForWavesPerEU: 145
; Occupancy: 6
; WaveLimiterHint : 1
; COMPUTE_PGM_RSRC2:SCRATCH_EN: 0
; COMPUTE_PGM_RSRC2:USER_SGPR: 6
; COMPUTE_PGM_RSRC2:TRAP_HANDLER: 0
; COMPUTE_PGM_RSRC2:TGID_X_EN: 1
; COMPUTE_PGM_RSRC2:TGID_Y_EN: 0
; COMPUTE_PGM_RSRC2:TGID_Z_EN: 0
; COMPUTE_PGM_RSRC2:TIDIG_COMP_CNT: 2
	.section	.text._ZN6thrust23THRUST_200600_302600_NS11hip_rocprim14__parallel_for6kernelILj256EZNS1_16__set_operations9doit_stepILb0ENS0_6detail15normal_iteratorINS0_10device_ptrIKiEEEESB_PiSC_lNS0_16discard_iteratorINS0_11use_defaultEEESC_NS0_4lessIiEENS4_23serial_set_intersectionEEE10hipError_tPvRmT0_T1_T2_T3_T4_SQ_T5_T6_PSQ_T7_T8_P12ihipStream_tbEUllE_jLj1EEEvSM_SN_SN_,"axG",@progbits,_ZN6thrust23THRUST_200600_302600_NS11hip_rocprim14__parallel_for6kernelILj256EZNS1_16__set_operations9doit_stepILb0ENS0_6detail15normal_iteratorINS0_10device_ptrIKiEEEESB_PiSC_lNS0_16discard_iteratorINS0_11use_defaultEEESC_NS0_4lessIiEENS4_23serial_set_intersectionEEE10hipError_tPvRmT0_T1_T2_T3_T4_SQ_T5_T6_PSQ_T7_T8_P12ihipStream_tbEUllE_jLj1EEEvSM_SN_SN_,comdat
	.protected	_ZN6thrust23THRUST_200600_302600_NS11hip_rocprim14__parallel_for6kernelILj256EZNS1_16__set_operations9doit_stepILb0ENS0_6detail15normal_iteratorINS0_10device_ptrIKiEEEESB_PiSC_lNS0_16discard_iteratorINS0_11use_defaultEEESC_NS0_4lessIiEENS4_23serial_set_intersectionEEE10hipError_tPvRmT0_T1_T2_T3_T4_SQ_T5_T6_PSQ_T7_T8_P12ihipStream_tbEUllE_jLj1EEEvSM_SN_SN_ ; -- Begin function _ZN6thrust23THRUST_200600_302600_NS11hip_rocprim14__parallel_for6kernelILj256EZNS1_16__set_operations9doit_stepILb0ENS0_6detail15normal_iteratorINS0_10device_ptrIKiEEEESB_PiSC_lNS0_16discard_iteratorINS0_11use_defaultEEESC_NS0_4lessIiEENS4_23serial_set_intersectionEEE10hipError_tPvRmT0_T1_T2_T3_T4_SQ_T5_T6_PSQ_T7_T8_P12ihipStream_tbEUllE_jLj1EEEvSM_SN_SN_
	.globl	_ZN6thrust23THRUST_200600_302600_NS11hip_rocprim14__parallel_for6kernelILj256EZNS1_16__set_operations9doit_stepILb0ENS0_6detail15normal_iteratorINS0_10device_ptrIKiEEEESB_PiSC_lNS0_16discard_iteratorINS0_11use_defaultEEESC_NS0_4lessIiEENS4_23serial_set_intersectionEEE10hipError_tPvRmT0_T1_T2_T3_T4_SQ_T5_T6_PSQ_T7_T8_P12ihipStream_tbEUllE_jLj1EEEvSM_SN_SN_
	.p2align	8
	.type	_ZN6thrust23THRUST_200600_302600_NS11hip_rocprim14__parallel_for6kernelILj256EZNS1_16__set_operations9doit_stepILb0ENS0_6detail15normal_iteratorINS0_10device_ptrIKiEEEESB_PiSC_lNS0_16discard_iteratorINS0_11use_defaultEEESC_NS0_4lessIiEENS4_23serial_set_intersectionEEE10hipError_tPvRmT0_T1_T2_T3_T4_SQ_T5_T6_PSQ_T7_T8_P12ihipStream_tbEUllE_jLj1EEEvSM_SN_SN_,@function
_ZN6thrust23THRUST_200600_302600_NS11hip_rocprim14__parallel_for6kernelILj256EZNS1_16__set_operations9doit_stepILb0ENS0_6detail15normal_iteratorINS0_10device_ptrIKiEEEESB_PiSC_lNS0_16discard_iteratorINS0_11use_defaultEEESC_NS0_4lessIiEENS4_23serial_set_intersectionEEE10hipError_tPvRmT0_T1_T2_T3_T4_SQ_T5_T6_PSQ_T7_T8_P12ihipStream_tbEUllE_jLj1EEEvSM_SN_SN_: ; @_ZN6thrust23THRUST_200600_302600_NS11hip_rocprim14__parallel_for6kernelILj256EZNS1_16__set_operations9doit_stepILb0ENS0_6detail15normal_iteratorINS0_10device_ptrIKiEEEESB_PiSC_lNS0_16discard_iteratorINS0_11use_defaultEEESC_NS0_4lessIiEENS4_23serial_set_intersectionEEE10hipError_tPvRmT0_T1_T2_T3_T4_SQ_T5_T6_PSQ_T7_T8_P12ihipStream_tbEUllE_jLj1EEEvSM_SN_SN_
; %bb.0:
	s_clause 0x2
	s_load_dwordx2 s[0:1], s[4:5], 0x30
	s_load_dwordx2 s[2:3], s[4:5], 0x20
	s_load_dwordx8 s[8:15], s[4:5], 0x0
	s_lshl_b32 s4, s6, 8
	s_waitcnt lgkmcnt(0)
	s_add_i32 s1, s1, s4
	s_sub_i32 s4, s0, s1
	s_mov_b32 s0, -1
	s_cmpk_gt_u32 s4, 0xff
	s_cbranch_scc0 .LBB28_3
; %bb.1:
	s_andn2_b32 vcc_lo, exec_lo, s0
	s_cbranch_vccz .LBB28_40
.LBB28_2:
	s_endpgm
.LBB28_3:
	v_cmp_gt_u32_e32 vcc_lo, s4, v0
	s_and_saveexec_b32 s4, vcc_lo
	s_cbranch_execz .LBB28_39
; %bb.4:
	v_add_nc_u32_e32 v3, s1, v0
	s_add_u32 s6, s10, s8
	s_addc_u32 s7, s11, s9
	v_mov_b32_e32 v4, 0
	s_mov_b32 s5, 0
	v_mad_u64_u32 v[1:2], null, 0xfff, v3, 0
	v_cmp_lt_i64_e32 vcc_lo, s[6:7], v[1:2]
	v_cndmask_b32_e64 v5, v1, s6, vcc_lo
	v_cndmask_b32_e64 v6, v2, s7, vcc_lo
	v_sub_co_u32 v1, vcc_lo, v5, s10
	v_subrev_co_ci_u32_e64 v2, null, s11, v6, vcc_lo
	v_cmp_lt_i64_e64 s0, s[8:9], v[5:6]
	v_cmp_lt_i64_e32 vcc_lo, 0, v[1:2]
	v_cndmask_b32_e64 v8, v6, s9, s0
	v_cndmask_b32_e64 v7, v5, s8, s0
	s_mov_b32 s0, exec_lo
	v_cndmask_b32_e32 v2, 0, v2, vcc_lo
	v_cndmask_b32_e32 v1, 0, v1, vcc_lo
	v_cmpx_lt_i64_e64 v[1:2], v[7:8]
	s_cbranch_execz .LBB28_8
; %bb.5:
	v_lshlrev_b64 v[9:10], 2, v[5:6]
	v_add_co_u32 v9, vcc_lo, s2, v9
	v_add_co_ci_u32_e64 v10, null, s3, v10, vcc_lo
	s_inst_prefetch 0x1
	.p2align	6
.LBB28_6:                               ; =>This Inner Loop Header: Depth=1
	v_add_co_u32 v11, vcc_lo, v7, v1
	v_add_co_ci_u32_e64 v12, null, v8, v2, vcc_lo
	v_lshrrev_b64 v[11:12], 1, v[11:12]
	v_lshlrev_b64 v[13:14], 2, v[11:12]
	v_xor_b32_e32 v15, -4, v13
	v_xor_b32_e32 v16, -1, v14
	v_add_co_u32 v13, vcc_lo, s14, v13
	v_add_co_ci_u32_e64 v14, null, s15, v14, vcc_lo
	v_add_co_u32 v15, vcc_lo, v9, v15
	v_add_co_ci_u32_e64 v16, null, v10, v16, vcc_lo
	global_load_dword v13, v[13:14], off
	global_load_dword v14, v[15:16], off
	v_add_co_u32 v15, vcc_lo, v11, 1
	v_add_co_ci_u32_e64 v16, null, 0, v12, vcc_lo
	s_waitcnt vmcnt(0)
	v_cmp_lt_i32_e32 vcc_lo, v14, v13
	v_cndmask_b32_e32 v8, v8, v12, vcc_lo
	v_cndmask_b32_e32 v7, v7, v11, vcc_lo
	;; [unrolled: 1-line block ×4, first 2 shown]
	v_cmp_ge_i64_e32 vcc_lo, v[1:2], v[7:8]
	s_or_b32 s5, vcc_lo, s5
	s_andn2_b32 exec_lo, exec_lo, s5
	s_cbranch_execnz .LBB28_6
; %bb.7:
	s_inst_prefetch 0x2
	s_or_b32 exec_lo, exec_lo, s5
.LBB28_8:
	s_or_b32 exec_lo, exec_lo, s0
	v_sub_co_u32 v11, vcc_lo, v5, v1
	v_mov_b32_e32 v9, 0
	v_sub_co_ci_u32_e64 v12, null, v6, v2, vcc_lo
	v_mov_b32_e32 v10, 0
	s_mov_b32 s5, exec_lo
	v_cmpx_gt_i64_e64 s[10:11], v[11:12]
	s_cbranch_execz .LBB28_38
; %bb.9:
	v_lshlrev_b64 v[7:8], 2, v[11:12]
	v_mov_b32_e32 v13, 0
	v_mov_b32_e32 v14, 0
	s_mov_b32 s0, exec_lo
	v_add_co_u32 v9, vcc_lo, s2, v7
	v_add_co_ci_u32_e64 v10, null, s3, v8, vcc_lo
	v_mov_b32_e32 v7, 0
	v_mov_b32_e32 v8, 0
	global_load_dword v19, v[9:10], off
	v_cmpx_lt_i64_e32 0, v[1:2]
	s_cbranch_execnz .LBB28_14
; %bb.10:
	s_or_b32 exec_lo, exec_lo, s0
	s_mov_b32 s0, exec_lo
	v_cmpx_lt_u64_e64 v[7:8], v[13:14]
	s_cbranch_execnz .LBB28_15
.LBB28_11:
	s_or_b32 exec_lo, exec_lo, s0
	s_mov_b32 s0, exec_lo
	v_cmpx_lt_u64_e64 v[7:8], v[13:14]
	s_cbranch_execnz .LBB28_16
.LBB28_12:
	s_or_b32 exec_lo, exec_lo, s0
	s_mov_b32 s0, exec_lo
	v_cmpx_lt_u64_e64 v[7:8], v[13:14]
	s_cbranch_execnz .LBB28_17
.LBB28_13:
	s_or_b32 exec_lo, exec_lo, s0
	s_mov_b32 s0, exec_lo
	v_cmpx_lt_u64_e64 v[7:8], v[13:14]
	s_cbranch_execnz .LBB28_18
	s_branch .LBB28_21
.LBB28_14:
	v_mad_u64_u32 v[7:8], null, 0x1ff, v1, 0
	v_mad_u64_u32 v[13:14], null, 0x1ff, v2, v[8:9]
	v_mov_b32_e32 v8, v13
	v_lshrrev_b64 v[13:14], 9, v[7:8]
	v_lshlrev_b64 v[7:8], 2, v[13:14]
	v_add_co_u32 v7, vcc_lo, s14, v7
	v_add_co_ci_u32_e64 v8, null, s15, v8, vcc_lo
	v_add_co_u32 v15, vcc_lo, v13, 1
	global_load_dword v7, v[7:8], off
	v_add_co_ci_u32_e64 v8, null, 0, v14, vcc_lo
	s_waitcnt vmcnt(0)
	v_cmp_lt_i32_e32 vcc_lo, v7, v19
	v_cndmask_b32_e32 v8, 0, v8, vcc_lo
	v_cndmask_b32_e32 v7, 0, v15, vcc_lo
	;; [unrolled: 1-line block ×4, first 2 shown]
	s_or_b32 exec_lo, exec_lo, s0
	s_mov_b32 s0, exec_lo
	v_cmpx_lt_u64_e64 v[7:8], v[13:14]
	s_cbranch_execz .LBB28_11
.LBB28_15:
	v_mad_u64_u32 v[15:16], null, 0x7f, v13, v[7:8]
	v_mad_u64_u32 v[16:17], null, 0x7f, v14, v[16:17]
	v_lshrrev_b64 v[15:16], 7, v[15:16]
	v_lshlrev_b64 v[17:18], 2, v[15:16]
	v_add_co_u32 v17, vcc_lo, s14, v17
	v_add_co_ci_u32_e64 v18, null, s15, v18, vcc_lo
	global_load_dword v17, v[17:18], off
	v_add_co_u32 v18, vcc_lo, v15, 1
	v_add_co_ci_u32_e64 v20, null, 0, v16, vcc_lo
	s_waitcnt vmcnt(0)
	v_cmp_lt_i32_e32 vcc_lo, v17, v19
	v_cndmask_b32_e32 v8, v8, v20, vcc_lo
	v_cndmask_b32_e32 v7, v7, v18, vcc_lo
	;; [unrolled: 1-line block ×4, first 2 shown]
	s_or_b32 exec_lo, exec_lo, s0
	s_mov_b32 s0, exec_lo
	v_cmpx_lt_u64_e64 v[7:8], v[13:14]
	s_cbranch_execz .LBB28_12
.LBB28_16:
	v_mad_u64_u32 v[15:16], null, v13, 31, v[7:8]
	v_mad_u64_u32 v[16:17], null, v14, 31, v[16:17]
	v_lshrrev_b64 v[15:16], 5, v[15:16]
	v_lshlrev_b64 v[17:18], 2, v[15:16]
	v_add_co_u32 v17, vcc_lo, s14, v17
	v_add_co_ci_u32_e64 v18, null, s15, v18, vcc_lo
	global_load_dword v17, v[17:18], off
	v_add_co_u32 v18, vcc_lo, v15, 1
	v_add_co_ci_u32_e64 v20, null, 0, v16, vcc_lo
	s_waitcnt vmcnt(0)
	v_cmp_lt_i32_e32 vcc_lo, v17, v19
	v_cndmask_b32_e32 v8, v8, v20, vcc_lo
	v_cndmask_b32_e32 v7, v7, v18, vcc_lo
	v_cndmask_b32_e32 v14, v16, v14, vcc_lo
	v_cndmask_b32_e32 v13, v15, v13, vcc_lo
	s_or_b32 exec_lo, exec_lo, s0
	s_mov_b32 s0, exec_lo
	v_cmpx_lt_u64_e64 v[7:8], v[13:14]
	s_cbranch_execz .LBB28_13
.LBB28_17:
	v_mad_u64_u32 v[15:16], null, v13, 15, v[7:8]
	v_mad_u64_u32 v[16:17], null, v14, 15, v[16:17]
	v_lshrrev_b64 v[15:16], 4, v[15:16]
	v_lshlrev_b64 v[17:18], 2, v[15:16]
	v_add_co_u32 v17, vcc_lo, s14, v17
	v_add_co_ci_u32_e64 v18, null, s15, v18, vcc_lo
	global_load_dword v17, v[17:18], off
	v_add_co_u32 v18, vcc_lo, v15, 1
	v_add_co_ci_u32_e64 v20, null, 0, v16, vcc_lo
	s_waitcnt vmcnt(0)
	v_cmp_lt_i32_e32 vcc_lo, v17, v19
	v_cndmask_b32_e32 v8, v8, v20, vcc_lo
	v_cndmask_b32_e32 v7, v7, v18, vcc_lo
	;; [unrolled: 1-line block ×4, first 2 shown]
	s_or_b32 exec_lo, exec_lo, s0
	s_mov_b32 s0, exec_lo
	v_cmpx_lt_u64_e64 v[7:8], v[13:14]
	s_cbranch_execz .LBB28_21
.LBB28_18:
	s_mov_b32 s6, 0
	.p2align	6
.LBB28_19:                              ; =>This Inner Loop Header: Depth=1
	v_add_co_u32 v15, vcc_lo, v7, v13
	v_add_co_ci_u32_e64 v16, null, v8, v14, vcc_lo
	v_lshrrev_b64 v[15:16], 1, v[15:16]
	v_lshlrev_b64 v[17:18], 2, v[15:16]
	v_add_co_u32 v17, vcc_lo, s14, v17
	v_add_co_ci_u32_e64 v18, null, s15, v18, vcc_lo
	global_load_dword v17, v[17:18], off
	v_add_co_u32 v18, vcc_lo, v15, 1
	v_add_co_ci_u32_e64 v20, null, 0, v16, vcc_lo
	s_waitcnt vmcnt(0)
	v_cmp_lt_i32_e32 vcc_lo, v17, v19
	v_cndmask_b32_e32 v8, v8, v20, vcc_lo
	v_cndmask_b32_e32 v7, v7, v18, vcc_lo
	;; [unrolled: 1-line block ×4, first 2 shown]
	v_cmp_ge_i64_e32 vcc_lo, v[7:8], v[13:14]
	s_or_b32 s6, vcc_lo, s6
	s_andn2_b32 exec_lo, exec_lo, s6
	s_cbranch_execnz .LBB28_19
; %bb.20:
	s_or_b32 exec_lo, exec_lo, s6
.LBB28_21:
	s_or_b32 exec_lo, exec_lo, s0
	v_mov_b32_e32 v13, 0
	v_mov_b32_e32 v16, v12
	;; [unrolled: 1-line block ×4, first 2 shown]
	s_mov_b32 s0, exec_lo
	v_cmpx_lt_i64_e32 0, v[11:12]
	s_cbranch_execnz .LBB28_26
; %bb.22:
	s_or_b32 exec_lo, exec_lo, s0
	s_mov_b32 s0, exec_lo
	v_cmpx_lt_i64_e64 v[13:14], v[15:16]
	s_cbranch_execnz .LBB28_27
.LBB28_23:
	s_or_b32 exec_lo, exec_lo, s0
	s_mov_b32 s0, exec_lo
	v_cmpx_lt_i64_e64 v[13:14], v[15:16]
	s_cbranch_execnz .LBB28_28
.LBB28_24:
	s_or_b32 exec_lo, exec_lo, s0
	s_mov_b32 s0, exec_lo
	v_cmpx_lt_i64_e64 v[13:14], v[15:16]
	s_cbranch_execnz .LBB28_29
.LBB28_25:
	s_or_b32 exec_lo, exec_lo, s0
	s_mov_b32 s0, exec_lo
	v_cmpx_lt_i64_e64 v[13:14], v[15:16]
	s_cbranch_execnz .LBB28_30
	s_branch .LBB28_33
.LBB28_26:
	v_mad_u64_u32 v[13:14], null, 0x1ff, v11, 0
	v_mad_u64_u32 v[14:15], null, 0x1ff, v12, v[14:15]
	v_lshrrev_b64 v[15:16], 9, v[13:14]
	v_lshlrev_b64 v[13:14], 2, v[15:16]
	v_add_co_u32 v13, vcc_lo, s2, v13
	v_add_co_ci_u32_e64 v14, null, s3, v14, vcc_lo
	v_add_co_u32 v17, vcc_lo, v15, 1
	global_load_dword v13, v[13:14], off
	v_add_co_ci_u32_e64 v14, null, 0, v16, vcc_lo
	s_waitcnt vmcnt(0)
	v_cmp_lt_i32_e32 vcc_lo, v13, v19
	v_cndmask_b32_e32 v14, 0, v14, vcc_lo
	v_cndmask_b32_e32 v13, 0, v17, vcc_lo
	;; [unrolled: 1-line block ×4, first 2 shown]
	s_or_b32 exec_lo, exec_lo, s0
	s_mov_b32 s0, exec_lo
	v_cmpx_lt_i64_e64 v[13:14], v[15:16]
	s_cbranch_execz .LBB28_23
.LBB28_27:
	v_mad_u64_u32 v[17:18], null, 0x7f, v15, v[13:14]
	s_waitcnt vmcnt(0)
	v_mad_u64_u32 v[20:21], null, 0x7f, v16, v[18:19]
	v_mov_b32_e32 v18, v20
	v_lshrrev_b64 v[17:18], 7, v[17:18]
	v_lshlrev_b64 v[20:21], 2, v[17:18]
	v_add_co_u32 v20, vcc_lo, s2, v20
	v_add_co_ci_u32_e64 v21, null, s3, v21, vcc_lo
	global_load_dword v20, v[20:21], off
	v_add_co_u32 v21, vcc_lo, v17, 1
	v_add_co_ci_u32_e64 v22, null, 0, v18, vcc_lo
	s_waitcnt vmcnt(0)
	v_cmp_lt_i32_e32 vcc_lo, v20, v19
	v_cndmask_b32_e32 v14, v14, v22, vcc_lo
	v_cndmask_b32_e32 v13, v13, v21, vcc_lo
	;; [unrolled: 1-line block ×4, first 2 shown]
	s_or_b32 exec_lo, exec_lo, s0
	s_mov_b32 s0, exec_lo
	v_cmpx_lt_i64_e64 v[13:14], v[15:16]
	s_cbranch_execz .LBB28_24
.LBB28_28:
	v_mad_u64_u32 v[17:18], null, v15, 31, v[13:14]
	s_waitcnt vmcnt(0)
	v_mad_u64_u32 v[20:21], null, v16, 31, v[18:19]
	v_mov_b32_e32 v18, v20
	v_lshrrev_b64 v[17:18], 5, v[17:18]
	v_lshlrev_b64 v[20:21], 2, v[17:18]
	v_add_co_u32 v20, vcc_lo, s2, v20
	v_add_co_ci_u32_e64 v21, null, s3, v21, vcc_lo
	global_load_dword v20, v[20:21], off
	v_add_co_u32 v21, vcc_lo, v17, 1
	v_add_co_ci_u32_e64 v22, null, 0, v18, vcc_lo
	s_waitcnt vmcnt(0)
	v_cmp_lt_i32_e32 vcc_lo, v20, v19
	v_cndmask_b32_e32 v14, v14, v22, vcc_lo
	v_cndmask_b32_e32 v13, v13, v21, vcc_lo
	;; [unrolled: 1-line block ×4, first 2 shown]
	s_or_b32 exec_lo, exec_lo, s0
	s_mov_b32 s0, exec_lo
	v_cmpx_lt_i64_e64 v[13:14], v[15:16]
	s_cbranch_execz .LBB28_25
.LBB28_29:
	v_mad_u64_u32 v[17:18], null, v15, 15, v[13:14]
	s_waitcnt vmcnt(0)
	v_mad_u64_u32 v[20:21], null, v16, 15, v[18:19]
	v_mov_b32_e32 v18, v20
	v_lshrrev_b64 v[17:18], 4, v[17:18]
	v_lshlrev_b64 v[20:21], 2, v[17:18]
	v_add_co_u32 v20, vcc_lo, s2, v20
	v_add_co_ci_u32_e64 v21, null, s3, v21, vcc_lo
	global_load_dword v20, v[20:21], off
	v_add_co_u32 v21, vcc_lo, v17, 1
	v_add_co_ci_u32_e64 v22, null, 0, v18, vcc_lo
	s_waitcnt vmcnt(0)
	v_cmp_lt_i32_e32 vcc_lo, v20, v19
	v_cndmask_b32_e32 v14, v14, v22, vcc_lo
	v_cndmask_b32_e32 v13, v13, v21, vcc_lo
	;; [unrolled: 1-line block ×4, first 2 shown]
	s_or_b32 exec_lo, exec_lo, s0
	s_mov_b32 s0, exec_lo
	v_cmpx_lt_i64_e64 v[13:14], v[15:16]
	s_cbranch_execz .LBB28_33
.LBB28_30:
	s_mov_b32 s6, 0
	.p2align	6
.LBB28_31:                              ; =>This Inner Loop Header: Depth=1
	v_add_co_u32 v17, vcc_lo, v13, v15
	v_add_co_ci_u32_e64 v18, null, v14, v16, vcc_lo
	v_lshrrev_b64 v[17:18], 1, v[17:18]
	v_lshlrev_b64 v[20:21], 2, v[17:18]
	v_add_co_u32 v20, vcc_lo, s2, v20
	v_add_co_ci_u32_e64 v21, null, s3, v21, vcc_lo
	global_load_dword v20, v[20:21], off
	v_add_co_u32 v21, vcc_lo, v17, 1
	v_add_co_ci_u32_e64 v22, null, 0, v18, vcc_lo
	s_waitcnt vmcnt(0)
	v_cmp_lt_i32_e32 vcc_lo, v20, v19
	v_cndmask_b32_e32 v14, v14, v22, vcc_lo
	v_cndmask_b32_e32 v13, v13, v21, vcc_lo
	;; [unrolled: 1-line block ×4, first 2 shown]
	v_cmp_ge_i64_e32 vcc_lo, v[13:14], v[15:16]
	s_or_b32 s6, vcc_lo, s6
	s_andn2_b32 exec_lo, exec_lo, s6
	s_cbranch_execnz .LBB28_31
; %bb.32:
	s_or_b32 exec_lo, exec_lo, s6
.LBB28_33:
	s_or_b32 exec_lo, exec_lo, s0
	v_sub_co_u32 v1, vcc_lo, v1, v7
	v_sub_co_ci_u32_e64 v2, null, v2, v8, vcc_lo
	v_sub_co_u32 v17, vcc_lo, v11, v13
	v_sub_co_ci_u32_e64 v18, null, v12, v14, vcc_lo
	s_mov_b32 s0, exec_lo
	v_add_co_u32 v15, vcc_lo, v17, v1
	v_add_co_ci_u32_e64 v16, null, v18, v2, vcc_lo
	v_ashrrev_i64 v[1:2], 1, v[15:16]
	v_cmp_gt_i64_e32 vcc_lo, v[1:2], v[17:18]
	v_cndmask_b32_e32 v1, v17, v1, vcc_lo
	v_cndmask_b32_e32 v2, v18, v2, vcc_lo
	v_add_co_u32 v13, vcc_lo, v13, v1
	v_add_co_ci_u32_e64 v14, null, v14, v2, vcc_lo
	v_add_co_u32 v13, vcc_lo, v13, 1
	v_add_co_ci_u32_e64 v14, null, 0, v14, vcc_lo
	v_cmp_gt_i64_e32 vcc_lo, s[10:11], v[13:14]
	v_cndmask_b32_e32 v13, s10, v13, vcc_lo
	v_cndmask_b32_e32 v14, s11, v14, vcc_lo
	v_sub_co_u32 v13, vcc_lo, v13, v11
	v_sub_co_ci_u32_e64 v14, null, v14, v12, vcc_lo
	v_mov_b32_e32 v11, 0
	v_mov_b32_e32 v12, 0
	v_cmpx_lt_i64_e32 0, v[13:14]
	s_cbranch_execz .LBB28_37
; %bb.34:
	v_mov_b32_e32 v11, 0
	v_mov_b32_e32 v12, 0
	s_mov_b32 s6, 0
	.p2align	6
.LBB28_35:                              ; =>This Inner Loop Header: Depth=1
	v_add_co_u32 v20, vcc_lo, v11, v13
	v_add_co_ci_u32_e64 v21, null, v12, v14, vcc_lo
	v_lshrrev_b64 v[20:21], 1, v[20:21]
	v_lshlrev_b64 v[22:23], 2, v[20:21]
	v_add_co_u32 v22, vcc_lo, v9, v22
	v_add_co_ci_u32_e64 v23, null, v10, v23, vcc_lo
	global_load_dword v22, v[22:23], off
	v_add_co_u32 v23, vcc_lo, v20, 1
	v_add_co_ci_u32_e64 v24, null, 0, v21, vcc_lo
	s_waitcnt vmcnt(0)
	v_cmp_lt_i32_e32 vcc_lo, v19, v22
	v_cndmask_b32_e32 v12, v24, v12, vcc_lo
	v_cndmask_b32_e32 v11, v23, v11, vcc_lo
	;; [unrolled: 1-line block ×4, first 2 shown]
	v_cmp_ge_i64_e32 vcc_lo, v[11:12], v[13:14]
	s_or_b32 s6, vcc_lo, s6
	s_andn2_b32 exec_lo, exec_lo, s6
	s_cbranch_execnz .LBB28_35
; %bb.36:
	s_or_b32 exec_lo, exec_lo, s6
	v_ashrrev_i32_e32 v12, 31, v11
.LBB28_37:
	s_or_b32 exec_lo, exec_lo, s0
	v_add_co_u32 v9, vcc_lo, v11, v17
	v_add_co_ci_u32_e64 v10, null, v12, v18, vcc_lo
	s_mov_b32 s6, 0
	v_cmp_lt_i64_e32 vcc_lo, v[9:10], v[1:2]
	v_cndmask_b32_e32 v13, v1, v9, vcc_lo
	v_cndmask_b32_e32 v14, v2, v10, vcc_lo
	v_sub_co_u32 v11, vcc_lo, v15, v13
	v_sub_co_ci_u32_e64 v12, null, v16, v14, vcc_lo
	v_add_co_u32 v13, vcc_lo, v13, 1
	v_add_co_ci_u32_e64 v14, null, 0, v14, vcc_lo
	v_cmp_lt_i64_e32 vcc_lo, v[1:2], v[9:10]
	v_mov_b32_e32 v10, s6
	v_cmp_eq_u64_e64 s0, v[11:12], v[13:14]
	s_and_b32 s0, s0, vcc_lo
	v_add_co_u32 v1, vcc_lo, v11, v7
	v_cndmask_b32_e64 v9, 0, 1, s0
	v_add_co_ci_u32_e64 v2, null, v12, v8, vcc_lo
.LBB28_38:
	s_or_b32 exec_lo, exec_lo, s5
	v_lshlrev_b64 v[3:4], 4, v[3:4]
	v_add_co_u32 v7, vcc_lo, v9, v5
	v_add_co_ci_u32_e64 v8, null, v10, v6, vcc_lo
	v_add_co_u32 v5, vcc_lo, s12, v3
	v_add_co_ci_u32_e64 v6, null, s13, v4, vcc_lo
	v_sub_co_u32 v3, vcc_lo, v7, v1
	v_sub_co_ci_u32_e64 v4, null, v8, v2, vcc_lo
	global_store_dwordx4 v[5:6], v[1:4], off
.LBB28_39:
	s_or_b32 exec_lo, exec_lo, s4
	s_cbranch_execnz .LBB28_2
.LBB28_40:
	v_add_nc_u32_e32 v2, s1, v0
	s_add_u32 s0, s10, s8
	s_addc_u32 s1, s11, s9
	v_mov_b32_e32 v3, 0
	v_mad_u64_u32 v[0:1], null, 0xfff, v2, 0
	v_cmp_lt_i64_e32 vcc_lo, s[0:1], v[0:1]
	v_cndmask_b32_e64 v4, v0, s0, vcc_lo
	v_cndmask_b32_e64 v5, v1, s1, vcc_lo
	s_mov_b32 s1, 0
	v_sub_co_u32 v0, vcc_lo, v4, s10
	v_subrev_co_ci_u32_e64 v1, null, s11, v5, vcc_lo
	v_cmp_lt_i64_e64 s0, s[8:9], v[4:5]
	v_cmp_lt_i64_e32 vcc_lo, 0, v[0:1]
	v_cndmask_b32_e64 v7, v5, s9, s0
	v_cndmask_b32_e64 v6, v4, s8, s0
	s_mov_b32 s0, exec_lo
	v_cndmask_b32_e32 v1, 0, v1, vcc_lo
	v_cndmask_b32_e32 v0, 0, v0, vcc_lo
	v_cmpx_lt_i64_e64 v[0:1], v[6:7]
	s_cbranch_execz .LBB28_44
; %bb.41:
	v_lshlrev_b64 v[8:9], 2, v[4:5]
	v_add_co_u32 v8, vcc_lo, s2, v8
	v_add_co_ci_u32_e64 v9, null, s3, v9, vcc_lo
	s_inst_prefetch 0x1
	.p2align	6
.LBB28_42:                              ; =>This Inner Loop Header: Depth=1
	v_add_co_u32 v10, vcc_lo, v6, v0
	v_add_co_ci_u32_e64 v11, null, v7, v1, vcc_lo
	v_lshrrev_b64 v[10:11], 1, v[10:11]
	v_lshlrev_b64 v[12:13], 2, v[10:11]
	v_xor_b32_e32 v14, -4, v12
	v_xor_b32_e32 v15, -1, v13
	v_add_co_u32 v12, vcc_lo, s14, v12
	v_add_co_ci_u32_e64 v13, null, s15, v13, vcc_lo
	v_add_co_u32 v14, vcc_lo, v8, v14
	v_add_co_ci_u32_e64 v15, null, v9, v15, vcc_lo
	global_load_dword v12, v[12:13], off
	global_load_dword v13, v[14:15], off
	v_add_co_u32 v14, vcc_lo, v10, 1
	v_add_co_ci_u32_e64 v15, null, 0, v11, vcc_lo
	s_waitcnt vmcnt(0)
	v_cmp_lt_i32_e32 vcc_lo, v13, v12
	v_cndmask_b32_e32 v7, v7, v11, vcc_lo
	v_cndmask_b32_e32 v6, v6, v10, vcc_lo
	;; [unrolled: 1-line block ×4, first 2 shown]
	v_cmp_ge_i64_e32 vcc_lo, v[0:1], v[6:7]
	s_or_b32 s1, vcc_lo, s1
	s_andn2_b32 exec_lo, exec_lo, s1
	s_cbranch_execnz .LBB28_42
; %bb.43:
	s_inst_prefetch 0x2
	s_or_b32 exec_lo, exec_lo, s1
.LBB28_44:
	s_or_b32 exec_lo, exec_lo, s0
	v_sub_co_u32 v10, vcc_lo, v4, v0
	v_mov_b32_e32 v8, 0
	v_sub_co_ci_u32_e64 v11, null, v5, v1, vcc_lo
	v_mov_b32_e32 v9, 0
	s_mov_b32 s1, exec_lo
	v_cmpx_gt_i64_e64 s[10:11], v[10:11]
	s_cbranch_execz .LBB28_74
; %bb.45:
	v_lshlrev_b64 v[6:7], 2, v[10:11]
	v_mov_b32_e32 v12, 0
	v_mov_b32_e32 v13, 0
	s_mov_b32 s0, exec_lo
	v_add_co_u32 v8, vcc_lo, s2, v6
	v_add_co_ci_u32_e64 v9, null, s3, v7, vcc_lo
	v_mov_b32_e32 v6, 0
	v_mov_b32_e32 v7, 0
	global_load_dword v18, v[8:9], off
	v_cmpx_lt_i64_e32 0, v[0:1]
	s_cbranch_execnz .LBB28_50
; %bb.46:
	s_or_b32 exec_lo, exec_lo, s0
	s_mov_b32 s0, exec_lo
	v_cmpx_lt_u64_e64 v[6:7], v[12:13]
	s_cbranch_execnz .LBB28_51
.LBB28_47:
	s_or_b32 exec_lo, exec_lo, s0
	s_mov_b32 s0, exec_lo
	v_cmpx_lt_u64_e64 v[6:7], v[12:13]
	s_cbranch_execnz .LBB28_52
.LBB28_48:
	s_or_b32 exec_lo, exec_lo, s0
	s_mov_b32 s0, exec_lo
	v_cmpx_lt_u64_e64 v[6:7], v[12:13]
	s_cbranch_execnz .LBB28_53
.LBB28_49:
	s_or_b32 exec_lo, exec_lo, s0
	s_mov_b32 s0, exec_lo
	v_cmpx_lt_u64_e64 v[6:7], v[12:13]
	s_cbranch_execnz .LBB28_54
	s_branch .LBB28_57
.LBB28_50:
	v_mad_u64_u32 v[6:7], null, 0x1ff, v0, 0
	v_mad_u64_u32 v[12:13], null, 0x1ff, v1, v[7:8]
	v_mov_b32_e32 v7, v12
	v_lshrrev_b64 v[12:13], 9, v[6:7]
	v_lshlrev_b64 v[6:7], 2, v[12:13]
	v_add_co_u32 v6, vcc_lo, s14, v6
	v_add_co_ci_u32_e64 v7, null, s15, v7, vcc_lo
	v_add_co_u32 v14, vcc_lo, v12, 1
	global_load_dword v6, v[6:7], off
	v_add_co_ci_u32_e64 v7, null, 0, v13, vcc_lo
	s_waitcnt vmcnt(0)
	v_cmp_lt_i32_e32 vcc_lo, v6, v18
	v_cndmask_b32_e32 v7, 0, v7, vcc_lo
	v_cndmask_b32_e32 v6, 0, v14, vcc_lo
	;; [unrolled: 1-line block ×4, first 2 shown]
	s_or_b32 exec_lo, exec_lo, s0
	s_mov_b32 s0, exec_lo
	v_cmpx_lt_u64_e64 v[6:7], v[12:13]
	s_cbranch_execz .LBB28_47
.LBB28_51:
	v_mad_u64_u32 v[14:15], null, 0x7f, v12, v[6:7]
	v_mad_u64_u32 v[15:16], null, 0x7f, v13, v[15:16]
	v_lshrrev_b64 v[14:15], 7, v[14:15]
	v_lshlrev_b64 v[16:17], 2, v[14:15]
	v_add_co_u32 v16, vcc_lo, s14, v16
	v_add_co_ci_u32_e64 v17, null, s15, v17, vcc_lo
	global_load_dword v16, v[16:17], off
	v_add_co_u32 v17, vcc_lo, v14, 1
	s_waitcnt vmcnt(2)
	v_add_co_ci_u32_e64 v19, null, 0, v15, vcc_lo
	s_waitcnt vmcnt(0)
	v_cmp_lt_i32_e32 vcc_lo, v16, v18
	v_cndmask_b32_e32 v7, v7, v19, vcc_lo
	v_cndmask_b32_e32 v6, v6, v17, vcc_lo
	;; [unrolled: 1-line block ×4, first 2 shown]
	s_or_b32 exec_lo, exec_lo, s0
	s_mov_b32 s0, exec_lo
	v_cmpx_lt_u64_e64 v[6:7], v[12:13]
	s_cbranch_execz .LBB28_48
.LBB28_52:
	v_mad_u64_u32 v[14:15], null, v12, 31, v[6:7]
	v_mad_u64_u32 v[15:16], null, v13, 31, v[15:16]
	v_lshrrev_b64 v[14:15], 5, v[14:15]
	v_lshlrev_b64 v[16:17], 2, v[14:15]
	v_add_co_u32 v16, vcc_lo, s14, v16
	v_add_co_ci_u32_e64 v17, null, s15, v17, vcc_lo
	global_load_dword v16, v[16:17], off
	v_add_co_u32 v17, vcc_lo, v14, 1
	s_waitcnt vmcnt(2)
	v_add_co_ci_u32_e64 v19, null, 0, v15, vcc_lo
	s_waitcnt vmcnt(0)
	v_cmp_lt_i32_e32 vcc_lo, v16, v18
	v_cndmask_b32_e32 v7, v7, v19, vcc_lo
	v_cndmask_b32_e32 v6, v6, v17, vcc_lo
	;; [unrolled: 1-line block ×4, first 2 shown]
	s_or_b32 exec_lo, exec_lo, s0
	s_mov_b32 s0, exec_lo
	v_cmpx_lt_u64_e64 v[6:7], v[12:13]
	s_cbranch_execz .LBB28_49
.LBB28_53:
	v_mad_u64_u32 v[14:15], null, v12, 15, v[6:7]
	v_mad_u64_u32 v[15:16], null, v13, 15, v[15:16]
	v_lshrrev_b64 v[14:15], 4, v[14:15]
	v_lshlrev_b64 v[16:17], 2, v[14:15]
	v_add_co_u32 v16, vcc_lo, s14, v16
	v_add_co_ci_u32_e64 v17, null, s15, v17, vcc_lo
	global_load_dword v16, v[16:17], off
	v_add_co_u32 v17, vcc_lo, v14, 1
	s_waitcnt vmcnt(2)
	v_add_co_ci_u32_e64 v19, null, 0, v15, vcc_lo
	s_waitcnt vmcnt(0)
	v_cmp_lt_i32_e32 vcc_lo, v16, v18
	v_cndmask_b32_e32 v7, v7, v19, vcc_lo
	v_cndmask_b32_e32 v6, v6, v17, vcc_lo
	;; [unrolled: 1-line block ×4, first 2 shown]
	s_or_b32 exec_lo, exec_lo, s0
	s_mov_b32 s0, exec_lo
	v_cmpx_lt_u64_e64 v[6:7], v[12:13]
	s_cbranch_execz .LBB28_57
.LBB28_54:
	s_mov_b32 s4, 0
	.p2align	6
.LBB28_55:                              ; =>This Inner Loop Header: Depth=1
	v_add_co_u32 v14, vcc_lo, v6, v12
	v_add_co_ci_u32_e64 v15, null, v7, v13, vcc_lo
	v_lshrrev_b64 v[14:15], 1, v[14:15]
	v_lshlrev_b64 v[16:17], 2, v[14:15]
	v_add_co_u32 v16, vcc_lo, s14, v16
	v_add_co_ci_u32_e64 v17, null, s15, v17, vcc_lo
	global_load_dword v16, v[16:17], off
	v_add_co_u32 v17, vcc_lo, v14, 1
	s_waitcnt vmcnt(2)
	v_add_co_ci_u32_e64 v19, null, 0, v15, vcc_lo
	s_waitcnt vmcnt(0)
	v_cmp_lt_i32_e32 vcc_lo, v16, v18
	v_cndmask_b32_e32 v7, v7, v19, vcc_lo
	v_cndmask_b32_e32 v6, v6, v17, vcc_lo
	v_cndmask_b32_e32 v13, v15, v13, vcc_lo
	v_cndmask_b32_e32 v12, v14, v12, vcc_lo
	v_cmp_ge_i64_e32 vcc_lo, v[6:7], v[12:13]
	s_or_b32 s4, vcc_lo, s4
	s_andn2_b32 exec_lo, exec_lo, s4
	s_cbranch_execnz .LBB28_55
; %bb.56:
	s_or_b32 exec_lo, exec_lo, s4
.LBB28_57:
	s_or_b32 exec_lo, exec_lo, s0
	v_mov_b32_e32 v12, 0
	v_mov_b32_e32 v15, v11
	;; [unrolled: 1-line block ×4, first 2 shown]
	s_mov_b32 s0, exec_lo
	v_cmpx_lt_i64_e32 0, v[10:11]
	s_cbranch_execnz .LBB28_62
; %bb.58:
	s_or_b32 exec_lo, exec_lo, s0
	s_mov_b32 s0, exec_lo
	v_cmpx_lt_i64_e64 v[12:13], v[14:15]
	s_cbranch_execnz .LBB28_63
.LBB28_59:
	s_or_b32 exec_lo, exec_lo, s0
	s_mov_b32 s0, exec_lo
	v_cmpx_lt_i64_e64 v[12:13], v[14:15]
	s_cbranch_execnz .LBB28_64
.LBB28_60:
	s_or_b32 exec_lo, exec_lo, s0
	s_mov_b32 s0, exec_lo
	v_cmpx_lt_i64_e64 v[12:13], v[14:15]
	s_cbranch_execnz .LBB28_65
.LBB28_61:
	s_or_b32 exec_lo, exec_lo, s0
	s_mov_b32 s0, exec_lo
	v_cmpx_lt_i64_e64 v[12:13], v[14:15]
	s_cbranch_execnz .LBB28_66
	s_branch .LBB28_69
.LBB28_62:
	v_mad_u64_u32 v[12:13], null, 0x1ff, v10, 0
	v_mad_u64_u32 v[13:14], null, 0x1ff, v11, v[13:14]
	v_lshrrev_b64 v[14:15], 9, v[12:13]
	v_lshlrev_b64 v[12:13], 2, v[14:15]
	v_add_co_u32 v12, vcc_lo, s2, v12
	v_add_co_ci_u32_e64 v13, null, s3, v13, vcc_lo
	v_add_co_u32 v16, vcc_lo, v14, 1
	global_load_dword v12, v[12:13], off
	v_add_co_ci_u32_e64 v13, null, 0, v15, vcc_lo
	s_waitcnt vmcnt(0)
	v_cmp_lt_i32_e32 vcc_lo, v12, v18
	v_cndmask_b32_e32 v13, 0, v13, vcc_lo
	v_cndmask_b32_e32 v12, 0, v16, vcc_lo
	;; [unrolled: 1-line block ×4, first 2 shown]
	s_or_b32 exec_lo, exec_lo, s0
	s_mov_b32 s0, exec_lo
	v_cmpx_lt_i64_e64 v[12:13], v[14:15]
	s_cbranch_execz .LBB28_59
.LBB28_63:
	v_mad_u64_u32 v[16:17], null, 0x7f, v14, v[12:13]
	s_waitcnt vmcnt(0)
	v_mad_u64_u32 v[19:20], null, 0x7f, v15, v[17:18]
	v_mov_b32_e32 v17, v19
	v_lshrrev_b64 v[16:17], 7, v[16:17]
	v_lshlrev_b64 v[19:20], 2, v[16:17]
	v_add_co_u32 v19, vcc_lo, s2, v19
	v_add_co_ci_u32_e64 v20, null, s3, v20, vcc_lo
	global_load_dword v19, v[19:20], off
	v_add_co_u32 v20, vcc_lo, v16, 1
	v_add_co_ci_u32_e64 v21, null, 0, v17, vcc_lo
	s_waitcnt vmcnt(0)
	v_cmp_lt_i32_e32 vcc_lo, v19, v18
	v_cndmask_b32_e32 v13, v13, v21, vcc_lo
	v_cndmask_b32_e32 v12, v12, v20, vcc_lo
	;; [unrolled: 1-line block ×4, first 2 shown]
	s_or_b32 exec_lo, exec_lo, s0
	s_mov_b32 s0, exec_lo
	v_cmpx_lt_i64_e64 v[12:13], v[14:15]
	s_cbranch_execz .LBB28_60
.LBB28_64:
	v_mad_u64_u32 v[16:17], null, v14, 31, v[12:13]
	s_waitcnt vmcnt(0)
	v_mad_u64_u32 v[19:20], null, v15, 31, v[17:18]
	v_mov_b32_e32 v17, v19
	v_lshrrev_b64 v[16:17], 5, v[16:17]
	v_lshlrev_b64 v[19:20], 2, v[16:17]
	v_add_co_u32 v19, vcc_lo, s2, v19
	v_add_co_ci_u32_e64 v20, null, s3, v20, vcc_lo
	global_load_dword v19, v[19:20], off
	v_add_co_u32 v20, vcc_lo, v16, 1
	v_add_co_ci_u32_e64 v21, null, 0, v17, vcc_lo
	s_waitcnt vmcnt(0)
	v_cmp_lt_i32_e32 vcc_lo, v19, v18
	v_cndmask_b32_e32 v13, v13, v21, vcc_lo
	v_cndmask_b32_e32 v12, v12, v20, vcc_lo
	;; [unrolled: 1-line block ×4, first 2 shown]
	s_or_b32 exec_lo, exec_lo, s0
	s_mov_b32 s0, exec_lo
	v_cmpx_lt_i64_e64 v[12:13], v[14:15]
	s_cbranch_execz .LBB28_61
.LBB28_65:
	v_mad_u64_u32 v[16:17], null, v14, 15, v[12:13]
	s_waitcnt vmcnt(0)
	v_mad_u64_u32 v[19:20], null, v15, 15, v[17:18]
	v_mov_b32_e32 v17, v19
	v_lshrrev_b64 v[16:17], 4, v[16:17]
	v_lshlrev_b64 v[19:20], 2, v[16:17]
	v_add_co_u32 v19, vcc_lo, s2, v19
	v_add_co_ci_u32_e64 v20, null, s3, v20, vcc_lo
	global_load_dword v19, v[19:20], off
	v_add_co_u32 v20, vcc_lo, v16, 1
	v_add_co_ci_u32_e64 v21, null, 0, v17, vcc_lo
	s_waitcnt vmcnt(0)
	v_cmp_lt_i32_e32 vcc_lo, v19, v18
	v_cndmask_b32_e32 v13, v13, v21, vcc_lo
	v_cndmask_b32_e32 v12, v12, v20, vcc_lo
	v_cndmask_b32_e32 v15, v17, v15, vcc_lo
	v_cndmask_b32_e32 v14, v16, v14, vcc_lo
	s_or_b32 exec_lo, exec_lo, s0
	s_mov_b32 s0, exec_lo
	v_cmpx_lt_i64_e64 v[12:13], v[14:15]
	s_cbranch_execz .LBB28_69
.LBB28_66:
	s_mov_b32 s4, 0
	.p2align	6
.LBB28_67:                              ; =>This Inner Loop Header: Depth=1
	v_add_co_u32 v16, vcc_lo, v12, v14
	v_add_co_ci_u32_e64 v17, null, v13, v15, vcc_lo
	v_lshrrev_b64 v[16:17], 1, v[16:17]
	s_waitcnt vmcnt(1)
	v_lshlrev_b64 v[19:20], 2, v[16:17]
	v_add_co_u32 v19, vcc_lo, s2, v19
	v_add_co_ci_u32_e64 v20, null, s3, v20, vcc_lo
	global_load_dword v19, v[19:20], off
	v_add_co_u32 v20, vcc_lo, v16, 1
	v_add_co_ci_u32_e64 v21, null, 0, v17, vcc_lo
	s_waitcnt vmcnt(0)
	v_cmp_lt_i32_e32 vcc_lo, v19, v18
	v_cndmask_b32_e32 v13, v13, v21, vcc_lo
	v_cndmask_b32_e32 v12, v12, v20, vcc_lo
	;; [unrolled: 1-line block ×4, first 2 shown]
	v_cmp_ge_i64_e32 vcc_lo, v[12:13], v[14:15]
	s_or_b32 s4, vcc_lo, s4
	s_andn2_b32 exec_lo, exec_lo, s4
	s_cbranch_execnz .LBB28_67
; %bb.68:
	s_or_b32 exec_lo, exec_lo, s4
.LBB28_69:
	s_or_b32 exec_lo, exec_lo, s0
	v_sub_co_u32 v0, vcc_lo, v0, v6
	v_sub_co_ci_u32_e64 v1, null, v1, v7, vcc_lo
	v_sub_co_u32 v16, vcc_lo, v10, v12
	v_sub_co_ci_u32_e64 v17, null, v11, v13, vcc_lo
	s_mov_b32 s0, exec_lo
	v_add_co_u32 v14, vcc_lo, v16, v0
	v_add_co_ci_u32_e64 v15, null, v17, v1, vcc_lo
	v_ashrrev_i64 v[0:1], 1, v[14:15]
	v_cmp_gt_i64_e32 vcc_lo, v[0:1], v[16:17]
	v_cndmask_b32_e32 v0, v16, v0, vcc_lo
	v_cndmask_b32_e32 v1, v17, v1, vcc_lo
	v_add_co_u32 v12, vcc_lo, v12, v0
	v_add_co_ci_u32_e64 v13, null, v13, v1, vcc_lo
	v_add_co_u32 v12, vcc_lo, v12, 1
	v_add_co_ci_u32_e64 v13, null, 0, v13, vcc_lo
	v_cmp_gt_i64_e32 vcc_lo, s[10:11], v[12:13]
	v_cndmask_b32_e32 v12, s10, v12, vcc_lo
	v_cndmask_b32_e32 v13, s11, v13, vcc_lo
	v_sub_co_u32 v12, vcc_lo, v12, v10
	v_sub_co_ci_u32_e64 v13, null, v13, v11, vcc_lo
	v_mov_b32_e32 v10, 0
	v_mov_b32_e32 v11, 0
	v_cmpx_lt_i64_e32 0, v[12:13]
	s_cbranch_execz .LBB28_73
; %bb.70:
	v_mov_b32_e32 v10, 0
	v_mov_b32_e32 v11, 0
	s_mov_b32 s2, 0
	.p2align	6
.LBB28_71:                              ; =>This Inner Loop Header: Depth=1
	s_waitcnt vmcnt(1)
	v_add_co_u32 v19, vcc_lo, v10, v12
	v_add_co_ci_u32_e64 v20, null, v11, v13, vcc_lo
	v_lshrrev_b64 v[19:20], 1, v[19:20]
	v_lshlrev_b64 v[21:22], 2, v[19:20]
	v_add_co_u32 v21, vcc_lo, v8, v21
	v_add_co_ci_u32_e64 v22, null, v9, v22, vcc_lo
	global_load_dword v21, v[21:22], off
	v_add_co_u32 v22, vcc_lo, v19, 1
	v_add_co_ci_u32_e64 v23, null, 0, v20, vcc_lo
	s_waitcnt vmcnt(0)
	v_cmp_lt_i32_e32 vcc_lo, v18, v21
	v_cndmask_b32_e32 v11, v23, v11, vcc_lo
	v_cndmask_b32_e32 v10, v22, v10, vcc_lo
	v_cndmask_b32_e32 v13, v13, v20, vcc_lo
	v_cndmask_b32_e32 v12, v12, v19, vcc_lo
	v_cmp_ge_i64_e32 vcc_lo, v[10:11], v[12:13]
	s_or_b32 s2, vcc_lo, s2
	s_andn2_b32 exec_lo, exec_lo, s2
	s_cbranch_execnz .LBB28_71
; %bb.72:
	s_or_b32 exec_lo, exec_lo, s2
	v_ashrrev_i32_e32 v11, 31, v10
.LBB28_73:
	s_or_b32 exec_lo, exec_lo, s0
	v_add_co_u32 v8, vcc_lo, v10, v16
	v_add_co_ci_u32_e64 v9, null, v11, v17, vcc_lo
	s_mov_b32 s2, 0
	v_cmp_lt_i64_e32 vcc_lo, v[8:9], v[0:1]
	v_cndmask_b32_e32 v12, v0, v8, vcc_lo
	v_cndmask_b32_e32 v13, v1, v9, vcc_lo
	v_sub_co_u32 v10, vcc_lo, v14, v12
	v_sub_co_ci_u32_e64 v11, null, v15, v13, vcc_lo
	v_add_co_u32 v12, vcc_lo, v12, 1
	v_add_co_ci_u32_e64 v13, null, 0, v13, vcc_lo
	v_cmp_lt_i64_e32 vcc_lo, v[0:1], v[8:9]
	v_mov_b32_e32 v9, s2
	v_cmp_eq_u64_e64 s0, v[10:11], v[12:13]
	s_and_b32 s0, s0, vcc_lo
	v_add_co_u32 v0, vcc_lo, v10, v6
	v_cndmask_b32_e64 v8, 0, 1, s0
	v_add_co_ci_u32_e64 v1, null, v11, v7, vcc_lo
.LBB28_74:
	s_or_b32 exec_lo, exec_lo, s1
	v_lshlrev_b64 v[2:3], 4, v[2:3]
	v_add_co_u32 v6, vcc_lo, v8, v4
	v_add_co_ci_u32_e64 v7, null, v9, v5, vcc_lo
	v_add_co_u32 v4, vcc_lo, s12, v2
	v_add_co_ci_u32_e64 v5, null, s13, v3, vcc_lo
	v_sub_co_u32 v2, vcc_lo, v6, v0
	v_sub_co_ci_u32_e64 v3, null, v7, v1, vcc_lo
	global_store_dwordx4 v[4:5], v[0:3], off
	s_endpgm
	.section	.rodata,"a",@progbits
	.p2align	6, 0x0
	.amdhsa_kernel _ZN6thrust23THRUST_200600_302600_NS11hip_rocprim14__parallel_for6kernelILj256EZNS1_16__set_operations9doit_stepILb0ENS0_6detail15normal_iteratorINS0_10device_ptrIKiEEEESB_PiSC_lNS0_16discard_iteratorINS0_11use_defaultEEESC_NS0_4lessIiEENS4_23serial_set_intersectionEEE10hipError_tPvRmT0_T1_T2_T3_T4_SQ_T5_T6_PSQ_T7_T8_P12ihipStream_tbEUllE_jLj1EEEvSM_SN_SN_
		.amdhsa_group_segment_fixed_size 0
		.amdhsa_private_segment_fixed_size 0
		.amdhsa_kernarg_size 56
		.amdhsa_user_sgpr_count 6
		.amdhsa_user_sgpr_private_segment_buffer 1
		.amdhsa_user_sgpr_dispatch_ptr 0
		.amdhsa_user_sgpr_queue_ptr 0
		.amdhsa_user_sgpr_kernarg_segment_ptr 1
		.amdhsa_user_sgpr_dispatch_id 0
		.amdhsa_user_sgpr_flat_scratch_init 0
		.amdhsa_user_sgpr_private_segment_size 0
		.amdhsa_wavefront_size32 1
		.amdhsa_uses_dynamic_stack 0
		.amdhsa_system_sgpr_private_segment_wavefront_offset 0
		.amdhsa_system_sgpr_workgroup_id_x 1
		.amdhsa_system_sgpr_workgroup_id_y 0
		.amdhsa_system_sgpr_workgroup_id_z 0
		.amdhsa_system_sgpr_workgroup_info 0
		.amdhsa_system_vgpr_workitem_id 0
		.amdhsa_next_free_vgpr 25
		.amdhsa_next_free_sgpr 16
		.amdhsa_reserve_vcc 1
		.amdhsa_reserve_flat_scratch 0
		.amdhsa_float_round_mode_32 0
		.amdhsa_float_round_mode_16_64 0
		.amdhsa_float_denorm_mode_32 3
		.amdhsa_float_denorm_mode_16_64 3
		.amdhsa_dx10_clamp 1
		.amdhsa_ieee_mode 1
		.amdhsa_fp16_overflow 0
		.amdhsa_workgroup_processor_mode 1
		.amdhsa_memory_ordered 1
		.amdhsa_forward_progress 1
		.amdhsa_shared_vgpr_count 0
		.amdhsa_exception_fp_ieee_invalid_op 0
		.amdhsa_exception_fp_denorm_src 0
		.amdhsa_exception_fp_ieee_div_zero 0
		.amdhsa_exception_fp_ieee_overflow 0
		.amdhsa_exception_fp_ieee_underflow 0
		.amdhsa_exception_fp_ieee_inexact 0
		.amdhsa_exception_int_div_zero 0
	.end_amdhsa_kernel
	.section	.text._ZN6thrust23THRUST_200600_302600_NS11hip_rocprim14__parallel_for6kernelILj256EZNS1_16__set_operations9doit_stepILb0ENS0_6detail15normal_iteratorINS0_10device_ptrIKiEEEESB_PiSC_lNS0_16discard_iteratorINS0_11use_defaultEEESC_NS0_4lessIiEENS4_23serial_set_intersectionEEE10hipError_tPvRmT0_T1_T2_T3_T4_SQ_T5_T6_PSQ_T7_T8_P12ihipStream_tbEUllE_jLj1EEEvSM_SN_SN_,"axG",@progbits,_ZN6thrust23THRUST_200600_302600_NS11hip_rocprim14__parallel_for6kernelILj256EZNS1_16__set_operations9doit_stepILb0ENS0_6detail15normal_iteratorINS0_10device_ptrIKiEEEESB_PiSC_lNS0_16discard_iteratorINS0_11use_defaultEEESC_NS0_4lessIiEENS4_23serial_set_intersectionEEE10hipError_tPvRmT0_T1_T2_T3_T4_SQ_T5_T6_PSQ_T7_T8_P12ihipStream_tbEUllE_jLj1EEEvSM_SN_SN_,comdat
.Lfunc_end28:
	.size	_ZN6thrust23THRUST_200600_302600_NS11hip_rocprim14__parallel_for6kernelILj256EZNS1_16__set_operations9doit_stepILb0ENS0_6detail15normal_iteratorINS0_10device_ptrIKiEEEESB_PiSC_lNS0_16discard_iteratorINS0_11use_defaultEEESC_NS0_4lessIiEENS4_23serial_set_intersectionEEE10hipError_tPvRmT0_T1_T2_T3_T4_SQ_T5_T6_PSQ_T7_T8_P12ihipStream_tbEUllE_jLj1EEEvSM_SN_SN_, .Lfunc_end28-_ZN6thrust23THRUST_200600_302600_NS11hip_rocprim14__parallel_for6kernelILj256EZNS1_16__set_operations9doit_stepILb0ENS0_6detail15normal_iteratorINS0_10device_ptrIKiEEEESB_PiSC_lNS0_16discard_iteratorINS0_11use_defaultEEESC_NS0_4lessIiEENS4_23serial_set_intersectionEEE10hipError_tPvRmT0_T1_T2_T3_T4_SQ_T5_T6_PSQ_T7_T8_P12ihipStream_tbEUllE_jLj1EEEvSM_SN_SN_
                                        ; -- End function
	.set _ZN6thrust23THRUST_200600_302600_NS11hip_rocprim14__parallel_for6kernelILj256EZNS1_16__set_operations9doit_stepILb0ENS0_6detail15normal_iteratorINS0_10device_ptrIKiEEEESB_PiSC_lNS0_16discard_iteratorINS0_11use_defaultEEESC_NS0_4lessIiEENS4_23serial_set_intersectionEEE10hipError_tPvRmT0_T1_T2_T3_T4_SQ_T5_T6_PSQ_T7_T8_P12ihipStream_tbEUllE_jLj1EEEvSM_SN_SN_.num_vgpr, 25
	.set _ZN6thrust23THRUST_200600_302600_NS11hip_rocprim14__parallel_for6kernelILj256EZNS1_16__set_operations9doit_stepILb0ENS0_6detail15normal_iteratorINS0_10device_ptrIKiEEEESB_PiSC_lNS0_16discard_iteratorINS0_11use_defaultEEESC_NS0_4lessIiEENS4_23serial_set_intersectionEEE10hipError_tPvRmT0_T1_T2_T3_T4_SQ_T5_T6_PSQ_T7_T8_P12ihipStream_tbEUllE_jLj1EEEvSM_SN_SN_.num_agpr, 0
	.set _ZN6thrust23THRUST_200600_302600_NS11hip_rocprim14__parallel_for6kernelILj256EZNS1_16__set_operations9doit_stepILb0ENS0_6detail15normal_iteratorINS0_10device_ptrIKiEEEESB_PiSC_lNS0_16discard_iteratorINS0_11use_defaultEEESC_NS0_4lessIiEENS4_23serial_set_intersectionEEE10hipError_tPvRmT0_T1_T2_T3_T4_SQ_T5_T6_PSQ_T7_T8_P12ihipStream_tbEUllE_jLj1EEEvSM_SN_SN_.numbered_sgpr, 16
	.set _ZN6thrust23THRUST_200600_302600_NS11hip_rocprim14__parallel_for6kernelILj256EZNS1_16__set_operations9doit_stepILb0ENS0_6detail15normal_iteratorINS0_10device_ptrIKiEEEESB_PiSC_lNS0_16discard_iteratorINS0_11use_defaultEEESC_NS0_4lessIiEENS4_23serial_set_intersectionEEE10hipError_tPvRmT0_T1_T2_T3_T4_SQ_T5_T6_PSQ_T7_T8_P12ihipStream_tbEUllE_jLj1EEEvSM_SN_SN_.num_named_barrier, 0
	.set _ZN6thrust23THRUST_200600_302600_NS11hip_rocprim14__parallel_for6kernelILj256EZNS1_16__set_operations9doit_stepILb0ENS0_6detail15normal_iteratorINS0_10device_ptrIKiEEEESB_PiSC_lNS0_16discard_iteratorINS0_11use_defaultEEESC_NS0_4lessIiEENS4_23serial_set_intersectionEEE10hipError_tPvRmT0_T1_T2_T3_T4_SQ_T5_T6_PSQ_T7_T8_P12ihipStream_tbEUllE_jLj1EEEvSM_SN_SN_.private_seg_size, 0
	.set _ZN6thrust23THRUST_200600_302600_NS11hip_rocprim14__parallel_for6kernelILj256EZNS1_16__set_operations9doit_stepILb0ENS0_6detail15normal_iteratorINS0_10device_ptrIKiEEEESB_PiSC_lNS0_16discard_iteratorINS0_11use_defaultEEESC_NS0_4lessIiEENS4_23serial_set_intersectionEEE10hipError_tPvRmT0_T1_T2_T3_T4_SQ_T5_T6_PSQ_T7_T8_P12ihipStream_tbEUllE_jLj1EEEvSM_SN_SN_.uses_vcc, 1
	.set _ZN6thrust23THRUST_200600_302600_NS11hip_rocprim14__parallel_for6kernelILj256EZNS1_16__set_operations9doit_stepILb0ENS0_6detail15normal_iteratorINS0_10device_ptrIKiEEEESB_PiSC_lNS0_16discard_iteratorINS0_11use_defaultEEESC_NS0_4lessIiEENS4_23serial_set_intersectionEEE10hipError_tPvRmT0_T1_T2_T3_T4_SQ_T5_T6_PSQ_T7_T8_P12ihipStream_tbEUllE_jLj1EEEvSM_SN_SN_.uses_flat_scratch, 0
	.set _ZN6thrust23THRUST_200600_302600_NS11hip_rocprim14__parallel_for6kernelILj256EZNS1_16__set_operations9doit_stepILb0ENS0_6detail15normal_iteratorINS0_10device_ptrIKiEEEESB_PiSC_lNS0_16discard_iteratorINS0_11use_defaultEEESC_NS0_4lessIiEENS4_23serial_set_intersectionEEE10hipError_tPvRmT0_T1_T2_T3_T4_SQ_T5_T6_PSQ_T7_T8_P12ihipStream_tbEUllE_jLj1EEEvSM_SN_SN_.has_dyn_sized_stack, 0
	.set _ZN6thrust23THRUST_200600_302600_NS11hip_rocprim14__parallel_for6kernelILj256EZNS1_16__set_operations9doit_stepILb0ENS0_6detail15normal_iteratorINS0_10device_ptrIKiEEEESB_PiSC_lNS0_16discard_iteratorINS0_11use_defaultEEESC_NS0_4lessIiEENS4_23serial_set_intersectionEEE10hipError_tPvRmT0_T1_T2_T3_T4_SQ_T5_T6_PSQ_T7_T8_P12ihipStream_tbEUllE_jLj1EEEvSM_SN_SN_.has_recursion, 0
	.set _ZN6thrust23THRUST_200600_302600_NS11hip_rocprim14__parallel_for6kernelILj256EZNS1_16__set_operations9doit_stepILb0ENS0_6detail15normal_iteratorINS0_10device_ptrIKiEEEESB_PiSC_lNS0_16discard_iteratorINS0_11use_defaultEEESC_NS0_4lessIiEENS4_23serial_set_intersectionEEE10hipError_tPvRmT0_T1_T2_T3_T4_SQ_T5_T6_PSQ_T7_T8_P12ihipStream_tbEUllE_jLj1EEEvSM_SN_SN_.has_indirect_call, 0
	.section	.AMDGPU.csdata,"",@progbits
; Kernel info:
; codeLenInByte = 4980
; TotalNumSgprs: 18
; NumVgprs: 25
; ScratchSize: 0
; MemoryBound: 0
; FloatMode: 240
; IeeeMode: 1
; LDSByteSize: 0 bytes/workgroup (compile time only)
; SGPRBlocks: 0
; VGPRBlocks: 3
; NumSGPRsForWavesPerEU: 18
; NumVGPRsForWavesPerEU: 25
; Occupancy: 16
; WaveLimiterHint : 0
; COMPUTE_PGM_RSRC2:SCRATCH_EN: 0
; COMPUTE_PGM_RSRC2:USER_SGPR: 6
; COMPUTE_PGM_RSRC2:TRAP_HANDLER: 0
; COMPUTE_PGM_RSRC2:TGID_X_EN: 1
; COMPUTE_PGM_RSRC2:TGID_Y_EN: 0
; COMPUTE_PGM_RSRC2:TGID_Z_EN: 0
; COMPUTE_PGM_RSRC2:TIDIG_COMP_CNT: 0
	.section	.text._ZN6thrust23THRUST_200600_302600_NS11hip_rocprim16__set_operations22lookback_set_op_kernelIN7rocprim17ROCPRIM_400000_NS13kernel_configILj256ELj16ELj4294967295EEELb0ENS0_6detail15normal_iteratorINS0_10device_ptrIKiEEEESD_PiSE_lNS0_16discard_iteratorINS0_11use_defaultEEESE_NS0_4lessIiEENS2_23serial_set_intersectionENS5_6detail19lookback_scan_stateIlLb0ELb1EEEEEvT1_T2_T3_T4_T6_T7_T8_T9_PNS0_4pairIT5_SX_EEPSX_T10_NSL_16ordered_block_idIjEE,"axG",@progbits,_ZN6thrust23THRUST_200600_302600_NS11hip_rocprim16__set_operations22lookback_set_op_kernelIN7rocprim17ROCPRIM_400000_NS13kernel_configILj256ELj16ELj4294967295EEELb0ENS0_6detail15normal_iteratorINS0_10device_ptrIKiEEEESD_PiSE_lNS0_16discard_iteratorINS0_11use_defaultEEESE_NS0_4lessIiEENS2_23serial_set_intersectionENS5_6detail19lookback_scan_stateIlLb0ELb1EEEEEvT1_T2_T3_T4_T6_T7_T8_T9_PNS0_4pairIT5_SX_EEPSX_T10_NSL_16ordered_block_idIjEE,comdat
	.protected	_ZN6thrust23THRUST_200600_302600_NS11hip_rocprim16__set_operations22lookback_set_op_kernelIN7rocprim17ROCPRIM_400000_NS13kernel_configILj256ELj16ELj4294967295EEELb0ENS0_6detail15normal_iteratorINS0_10device_ptrIKiEEEESD_PiSE_lNS0_16discard_iteratorINS0_11use_defaultEEESE_NS0_4lessIiEENS2_23serial_set_intersectionENS5_6detail19lookback_scan_stateIlLb0ELb1EEEEEvT1_T2_T3_T4_T6_T7_T8_T9_PNS0_4pairIT5_SX_EEPSX_T10_NSL_16ordered_block_idIjEE ; -- Begin function _ZN6thrust23THRUST_200600_302600_NS11hip_rocprim16__set_operations22lookback_set_op_kernelIN7rocprim17ROCPRIM_400000_NS13kernel_configILj256ELj16ELj4294967295EEELb0ENS0_6detail15normal_iteratorINS0_10device_ptrIKiEEEESD_PiSE_lNS0_16discard_iteratorINS0_11use_defaultEEESE_NS0_4lessIiEENS2_23serial_set_intersectionENS5_6detail19lookback_scan_stateIlLb0ELb1EEEEEvT1_T2_T3_T4_T6_T7_T8_T9_PNS0_4pairIT5_SX_EEPSX_T10_NSL_16ordered_block_idIjEE
	.globl	_ZN6thrust23THRUST_200600_302600_NS11hip_rocprim16__set_operations22lookback_set_op_kernelIN7rocprim17ROCPRIM_400000_NS13kernel_configILj256ELj16ELj4294967295EEELb0ENS0_6detail15normal_iteratorINS0_10device_ptrIKiEEEESD_PiSE_lNS0_16discard_iteratorINS0_11use_defaultEEESE_NS0_4lessIiEENS2_23serial_set_intersectionENS5_6detail19lookback_scan_stateIlLb0ELb1EEEEEvT1_T2_T3_T4_T6_T7_T8_T9_PNS0_4pairIT5_SX_EEPSX_T10_NSL_16ordered_block_idIjEE
	.p2align	8
	.type	_ZN6thrust23THRUST_200600_302600_NS11hip_rocprim16__set_operations22lookback_set_op_kernelIN7rocprim17ROCPRIM_400000_NS13kernel_configILj256ELj16ELj4294967295EEELb0ENS0_6detail15normal_iteratorINS0_10device_ptrIKiEEEESD_PiSE_lNS0_16discard_iteratorINS0_11use_defaultEEESE_NS0_4lessIiEENS2_23serial_set_intersectionENS5_6detail19lookback_scan_stateIlLb0ELb1EEEEEvT1_T2_T3_T4_T6_T7_T8_T9_PNS0_4pairIT5_SX_EEPSX_T10_NSL_16ordered_block_idIjEE,@function
_ZN6thrust23THRUST_200600_302600_NS11hip_rocprim16__set_operations22lookback_set_op_kernelIN7rocprim17ROCPRIM_400000_NS13kernel_configILj256ELj16ELj4294967295EEELb0ENS0_6detail15normal_iteratorINS0_10device_ptrIKiEEEESD_PiSE_lNS0_16discard_iteratorINS0_11use_defaultEEESE_NS0_4lessIiEENS2_23serial_set_intersectionENS5_6detail19lookback_scan_stateIlLb0ELb1EEEEEvT1_T2_T3_T4_T6_T7_T8_T9_PNS0_4pairIT5_SX_EEPSX_T10_NSL_16ordered_block_idIjEE: ; @_ZN6thrust23THRUST_200600_302600_NS11hip_rocprim16__set_operations22lookback_set_op_kernelIN7rocprim17ROCPRIM_400000_NS13kernel_configILj256ELj16ELj4294967295EEELb0ENS0_6detail15normal_iteratorINS0_10device_ptrIKiEEEESD_PiSE_lNS0_16discard_iteratorINS0_11use_defaultEEESE_NS0_4lessIiEENS2_23serial_set_intersectionENS5_6detail19lookback_scan_stateIlLb0ELb1EEEEEvT1_T2_T3_T4_T6_T7_T8_T9_PNS0_4pairIT5_SX_EEPSX_T10_NSL_16ordered_block_idIjEE
; %bb.0:
	s_clause 0x2
	s_load_dword s1, s[4:5], 0x6c
	s_load_dword s0, s[4:5], 0x60
	s_load_dwordx8 s[16:23], s[4:5], 0x40
	s_waitcnt lgkmcnt(0)
	s_lshr_b32 s2, s1, 16
	s_and_b32 s1, s1, 0xffff
	v_mad_u32_u24 v1, v2, s2, v1
	v_sub_nc_u32_e32 v2, 0, v0
	v_mul_lo_u32 v1, v1, s1
	s_mov_b32 s1, exec_lo
	v_cmpx_eq_u32_e64 v1, v2
	s_cbranch_execz .LBB29_4
; %bb.1:
	s_mov_b32 s3, exec_lo
	s_mov_b32 s2, exec_lo
	v_mbcnt_lo_u32_b32 v1, s3, 0
                                        ; implicit-def: $vgpr2
	v_cmpx_eq_u32_e32 0, v1
	s_cbranch_execz .LBB29_3
; %bb.2:
	s_bcnt1_i32_b32 s3, s3
	v_mov_b32_e32 v2, 0
	v_mov_b32_e32 v3, s3
	global_atomic_add v2, v2, v3, s[22:23] glc
.LBB29_3:
	s_or_b32 exec_lo, exec_lo, s2
	s_waitcnt vmcnt(0)
	v_readfirstlane_b32 s2, v2
	v_mov_b32_e32 v2, 0
	v_add_nc_u32_e32 v1, s2, v1
	ds_write_b32 v2, v1 offset:36864
.LBB29_4:
	s_or_b32 exec_lo, exec_lo, s1
	v_mov_b32_e32 v1, 0
	s_waitcnt lgkmcnt(0)
	s_barrier
	buffer_gl0_inv
	s_add_i32 s6, s0, -1
	ds_read_b32 v10, v1 offset:36864
	s_waitcnt lgkmcnt(0)
	v_readfirstlane_b32 s22, v10
	v_cmp_le_i32_e32 vcc_lo, s6, v10
	s_ashr_i32 s23, s22, 31
	s_lshl_b64 s[2:3], s[22:23], 4
	s_add_u32 s0, s16, s2
	s_addc_u32 s1, s17, s3
	s_and_b32 vcc_lo, exec_lo, vcc_lo
	s_clause 0x1
	global_load_dwordx4 v[2:5], v1, s[0:1]
	global_load_dwordx4 v[6:9], v1, s[0:1] offset:16
	s_load_dwordx4 s[0:3], s[4:5], 0x0
	s_waitcnt vmcnt(1)
	v_readfirstlane_b32 s4, v2
	s_waitcnt vmcnt(0)
	v_sub_nc_u32_e32 v17, v8, v4
	v_lshlrev_b64 v[4:5], 2, v[4:5]
	v_readfirstlane_b32 s5, v6
	v_mov_b32_e32 v2, s4
	s_sub_i32 s23, s5, s4
	v_lshlrev_b64 v[2:3], 2, v[2:3]
	s_waitcnt lgkmcnt(0)
	v_add_co_u32 v20, s0, s0, v2
	v_add_co_ci_u32_e64 v21, null, s1, v3, s0
	v_add_co_u32 v18, s0, s2, v4
	v_add_co_ci_u32_e64 v19, null, s3, v5, s0
	s_mov_b32 s0, -1
	s_cbranch_vccnz .LBB29_7
; %bb.5:
	s_and_b32 vcc_lo, exec_lo, s0
	s_cbranch_vccnz .LBB29_250
.LBB29_6:
	s_endpgm
.LBB29_7:
	v_add_nc_u32_e32 v3, s23, v17
	v_mov_b32_e32 v2, v1
	v_mov_b32_e32 v4, v1
	;; [unrolled: 1-line block ×15, first 2 shown]
	s_mov_b32 s0, exec_lo
	v_cmpx_lt_i32_e64 v0, v3
	s_cbranch_execz .LBB29_9
; %bb.8:
	v_mov_b32_e32 v2, 0
	v_subrev_nc_u32_e32 v1, s23, v0
	v_lshlrev_b32_e32 v6, 2, v0
	v_mov_b32_e32 v7, v2
	v_lshlrev_b64 v[4:5], 2, v[1:2]
	v_add_co_u32 v1, vcc_lo, v20, v6
	v_add_co_ci_u32_e64 v6, null, 0, v21, vcc_lo
	v_mov_b32_e32 v8, v2
	v_add_co_u32 v4, vcc_lo, v18, v4
	v_add_co_ci_u32_e64 v5, null, v19, v5, vcc_lo
	v_cmp_gt_i32_e32 vcc_lo, s23, v0
	v_mov_b32_e32 v9, v2
	v_mov_b32_e32 v10, v2
	;; [unrolled: 1-line block ×4, first 2 shown]
	v_cndmask_b32_e32 v5, v5, v6, vcc_lo
	v_cndmask_b32_e32 v4, v4, v1, vcc_lo
	v_mov_b32_e32 v6, v2
	v_mov_b32_e32 v14, v2
	;; [unrolled: 1-line block ×4, first 2 shown]
	global_load_dword v1, v[4:5], off
	v_mov_b32_e32 v4, v2
	v_mov_b32_e32 v5, v2
	;; [unrolled: 1-line block ×4, first 2 shown]
.LBB29_9:
	s_or_b32 exec_lo, exec_lo, s0
	v_or_b32_e32 v22, 0x100, v0
	s_mov_b32 s0, exec_lo
	v_cmpx_lt_i32_e64 v22, v3
	s_cbranch_execz .LBB29_11
; %bb.10:
	v_lshlrev_b32_e32 v2, 2, v0
	v_mov_b32_e32 v25, 0
	v_subrev_nc_u32_e32 v24, s23, v22
	v_add_co_u32 v2, vcc_lo, v20, v2
	v_lshlrev_b64 v[24:25], 2, v[24:25]
	v_add_co_ci_u32_e64 v26, null, 0, v21, vcc_lo
	v_add_co_u32 v2, vcc_lo, 0x400, v2
	v_add_co_ci_u32_e64 v26, null, 0, v26, vcc_lo
	v_add_co_u32 v24, vcc_lo, v18, v24
	v_add_co_ci_u32_e64 v25, null, v19, v25, vcc_lo
	v_cmp_gt_i32_e32 vcc_lo, s23, v22
	v_cndmask_b32_e32 v25, v25, v26, vcc_lo
	v_cndmask_b32_e32 v24, v24, v2, vcc_lo
	global_load_dword v2, v[24:25], off
.LBB29_11:
	s_or_b32 exec_lo, exec_lo, s0
	v_or_b32_e32 v22, 0x200, v0
	s_mov_b32 s0, exec_lo
	v_cmpx_lt_i32_e64 v22, v3
	s_cbranch_execz .LBB29_13
; %bb.12:
	v_mov_b32_e32 v25, 0
	v_subrev_nc_u32_e32 v24, s23, v22
	v_lshlrev_b32_e32 v4, 2, v22
	v_lshlrev_b64 v[24:25], 2, v[24:25]
	v_add_co_u32 v4, vcc_lo, v20, v4
	v_add_co_ci_u32_e64 v26, null, 0, v21, vcc_lo
	v_add_co_u32 v24, vcc_lo, v18, v24
	v_add_co_ci_u32_e64 v25, null, v19, v25, vcc_lo
	v_cmp_gt_i32_e32 vcc_lo, s23, v22
	v_cndmask_b32_e32 v25, v25, v26, vcc_lo
	v_cndmask_b32_e32 v24, v24, v4, vcc_lo
	global_load_dword v4, v[24:25], off
.LBB29_13:
	s_or_b32 exec_lo, exec_lo, s0
	v_or_b32_e32 v22, 0x300, v0
	s_mov_b32 s0, exec_lo
	v_cmpx_lt_i32_e64 v22, v3
	s_cbranch_execz .LBB29_15
; %bb.14:
	v_mov_b32_e32 v25, 0
	v_subrev_nc_u32_e32 v24, s23, v22
	v_lshlrev_b32_e32 v6, 2, v22
	v_lshlrev_b64 v[24:25], 2, v[24:25]
	v_add_co_u32 v6, vcc_lo, v20, v6
	v_add_co_ci_u32_e64 v26, null, 0, v21, vcc_lo
	v_add_co_u32 v24, vcc_lo, v18, v24
	v_add_co_ci_u32_e64 v25, null, v19, v25, vcc_lo
	v_cmp_gt_i32_e32 vcc_lo, s23, v22
	v_cndmask_b32_e32 v25, v25, v26, vcc_lo
	v_cndmask_b32_e32 v24, v24, v6, vcc_lo
	global_load_dword v6, v[24:25], off
.LBB29_15:
	;; [unrolled: 19-line block ×14, first 2 shown]
	s_or_b32 exec_lo, exec_lo, s0
	v_lshlrev_b32_e32 v24, 4, v0
	v_lshlrev_b32_e32 v22, 2, v0
	s_lshl_b32 s0, s23, 2
	s_mov_b32 s2, 0
	s_addk_i32 s0, 0x4800
	v_min_i32_e32 v3, v3, v24
	s_waitcnt vmcnt(0)
	ds_write2st64_b32 v22, v1, v2 offset0:76 offset1:80
	ds_write2st64_b32 v22, v4, v6 offset0:84 offset1:88
	s_mov_b32 s1, exec_lo
	ds_write2st64_b32 v22, v5, v7 offset0:92 offset1:96
	ds_write2st64_b32 v22, v8, v9 offset0:100 offset1:104
	;; [unrolled: 1-line block ×6, first 2 shown]
	v_sub_nc_u32_e32 v1, v3, v17
	v_min_i32_e32 v2, s23, v3
	s_waitcnt lgkmcnt(0)
	s_barrier
	buffer_gl0_inv
	v_max_i32_e32 v1, 0, v1
	v_cmpx_lt_i32_e64 v1, v2
	s_cbranch_execz .LBB29_43
; %bb.40:
	v_lshlrev_b32_e32 v4, 2, v3
	v_add3_u32 v4, s0, v4, 0x400
	.p2align	6
.LBB29_41:                              ; =>This Inner Loop Header: Depth=1
	v_add_nc_u32_e32 v5, v2, v1
	v_lshrrev_b32_e32 v5, 1, v5
	v_not_b32_e32 v6, v5
	v_lshlrev_b32_e32 v7, 2, v5
	v_add_nc_u32_e32 v8, 1, v5
	v_lshl_add_u32 v6, v6, 2, v4
	ds_read_b32 v7, v7 offset:19456
	ds_read_b32 v6, v6
	s_waitcnt lgkmcnt(0)
	v_cmp_lt_i32_e32 vcc_lo, v6, v7
	v_cndmask_b32_e32 v2, v2, v5, vcc_lo
	v_cndmask_b32_e32 v1, v8, v1, vcc_lo
	v_cmp_ge_i32_e32 vcc_lo, v1, v2
	s_or_b32 s2, vcc_lo, s2
	s_andn2_b32 exec_lo, exec_lo, s2
	s_cbranch_execnz .LBB29_41
; %bb.42:
	s_or_b32 exec_lo, exec_lo, s2
.LBB29_43:
	s_or_b32 exec_lo, exec_lo, s1
	v_or_b32_e32 v23, 0x4800, v22
	v_sub_nc_u32_e32 v6, v3, v1
	v_mov_b32_e32 v4, 0
	s_mov_b32 s1, exec_lo
	v_cmpx_lt_i32_e64 v6, v17
	s_cbranch_execz .LBB29_73
; %bb.44:
	v_lshl_add_u32 v4, v6, 2, s0
	v_mov_b32_e32 v2, 0
	v_mov_b32_e32 v7, 0
	s_mov_b32 s2, exec_lo
	ds_read_b32 v5, v4 offset:1024
	v_cmpx_lt_i32_e32 0, v1
	s_cbranch_execnz .LBB29_49
; %bb.45:
	s_or_b32 exec_lo, exec_lo, s2
	s_mov_b32 s2, exec_lo
	v_cmpx_lt_i32_e64 v2, v7
	s_cbranch_execnz .LBB29_50
.LBB29_46:
	s_or_b32 exec_lo, exec_lo, s2
	s_mov_b32 s2, exec_lo
	v_cmpx_lt_i32_e64 v2, v7
	s_cbranch_execnz .LBB29_51
.LBB29_47:
	s_or_b32 exec_lo, exec_lo, s2
	s_mov_b32 s2, exec_lo
	v_cmpx_lt_i32_e64 v2, v7
	s_cbranch_execnz .LBB29_52
.LBB29_48:
	s_or_b32 exec_lo, exec_lo, s2
	s_mov_b32 s2, exec_lo
	v_cmpx_lt_i32_e64 v2, v7
	s_cbranch_execnz .LBB29_53
	s_branch .LBB29_56
.LBB29_49:
	v_mul_lo_u32 v2, 0x1ff, v1
	v_ashrrev_i32_e32 v7, 9, v2
	v_lshlrev_b32_e32 v2, 2, v7
	v_add_nc_u32_e32 v8, 1, v7
	ds_read_b32 v2, v2 offset:19456
	s_waitcnt lgkmcnt(0)
	v_cmp_lt_i32_e32 vcc_lo, v2, v5
	v_cndmask_b32_e32 v2, 0, v8, vcc_lo
	v_cndmask_b32_e32 v7, v7, v1, vcc_lo
	s_or_b32 exec_lo, exec_lo, s2
	s_mov_b32 s2, exec_lo
	v_cmpx_lt_i32_e64 v2, v7
	s_cbranch_execz .LBB29_46
.LBB29_50:
	v_sub_nc_u32_e32 v8, v2, v7
	v_lshl_add_u32 v8, v7, 7, v8
	v_ashrrev_i32_e32 v8, 7, v8
	v_lshlrev_b32_e32 v9, 2, v8
	v_add_nc_u32_e32 v10, 1, v8
	ds_read_b32 v9, v9 offset:19456
	s_waitcnt lgkmcnt(0)
	v_cmp_lt_i32_e32 vcc_lo, v9, v5
	v_cndmask_b32_e32 v2, v2, v10, vcc_lo
	v_cndmask_b32_e32 v7, v8, v7, vcc_lo
	s_or_b32 exec_lo, exec_lo, s2
	s_mov_b32 s2, exec_lo
	v_cmpx_lt_i32_e64 v2, v7
	s_cbranch_execz .LBB29_47
.LBB29_51:
	v_sub_nc_u32_e32 v8, v2, v7
	v_lshl_add_u32 v8, v7, 5, v8
	v_ashrrev_i32_e32 v8, 5, v8
	v_lshlrev_b32_e32 v9, 2, v8
	v_add_nc_u32_e32 v10, 1, v8
	ds_read_b32 v9, v9 offset:19456
	s_waitcnt lgkmcnt(0)
	v_cmp_lt_i32_e32 vcc_lo, v9, v5
	v_cndmask_b32_e32 v2, v2, v10, vcc_lo
	v_cndmask_b32_e32 v7, v8, v7, vcc_lo
	s_or_b32 exec_lo, exec_lo, s2
	s_mov_b32 s2, exec_lo
	v_cmpx_lt_i32_e64 v2, v7
	s_cbranch_execz .LBB29_48
.LBB29_52:
	v_sub_nc_u32_e32 v8, v2, v7
	v_lshl_add_u32 v8, v7, 4, v8
	v_ashrrev_i32_e32 v8, 4, v8
	v_lshlrev_b32_e32 v9, 2, v8
	v_add_nc_u32_e32 v10, 1, v8
	ds_read_b32 v9, v9 offset:19456
	s_waitcnt lgkmcnt(0)
	v_cmp_lt_i32_e32 vcc_lo, v9, v5
	v_cndmask_b32_e32 v2, v2, v10, vcc_lo
	v_cndmask_b32_e32 v7, v8, v7, vcc_lo
	s_or_b32 exec_lo, exec_lo, s2
	s_mov_b32 s2, exec_lo
	v_cmpx_lt_i32_e64 v2, v7
	s_cbranch_execz .LBB29_56
.LBB29_53:
	s_mov_b32 s3, 0
.LBB29_54:                              ; =>This Inner Loop Header: Depth=1
	v_sub_nc_u32_e32 v8, v2, v7
	v_lshl_add_u32 v8, v7, 1, v8
	v_ashrrev_i32_e32 v8, 1, v8
	v_lshlrev_b32_e32 v9, 2, v8
	v_add_nc_u32_e32 v10, 1, v8
	ds_read_b32 v9, v9 offset:19456
	s_waitcnt lgkmcnt(0)
	v_cmp_lt_i32_e32 vcc_lo, v9, v5
	v_cndmask_b32_e32 v2, v2, v10, vcc_lo
	v_cndmask_b32_e32 v7, v8, v7, vcc_lo
	v_cmp_ge_i32_e32 vcc_lo, v2, v7
	s_or_b32 s3, vcc_lo, s3
	s_andn2_b32 exec_lo, exec_lo, s3
	s_cbranch_execnz .LBB29_54
; %bb.55:
	s_or_b32 exec_lo, exec_lo, s3
.LBB29_56:
	s_or_b32 exec_lo, exec_lo, s2
	v_mov_b32_e32 v7, 0
	v_mov_b32_e32 v8, v6
	s_mov_b32 s2, exec_lo
	v_cmpx_lt_i32_e32 0, v6
	s_cbranch_execnz .LBB29_61
; %bb.57:
	s_or_b32 exec_lo, exec_lo, s2
	s_mov_b32 s2, exec_lo
	v_cmpx_lt_i32_e64 v7, v8
	s_cbranch_execnz .LBB29_62
.LBB29_58:
	s_or_b32 exec_lo, exec_lo, s2
	s_mov_b32 s2, exec_lo
	v_cmpx_lt_i32_e64 v7, v8
	s_cbranch_execnz .LBB29_63
.LBB29_59:
	s_or_b32 exec_lo, exec_lo, s2
	s_mov_b32 s2, exec_lo
	v_cmpx_lt_i32_e64 v7, v8
	s_cbranch_execnz .LBB29_64
.LBB29_60:
	s_or_b32 exec_lo, exec_lo, s2
	s_mov_b32 s2, exec_lo
	v_cmpx_lt_i32_e64 v7, v8
	s_cbranch_execnz .LBB29_65
	s_branch .LBB29_68
.LBB29_61:
	v_mul_lo_u32 v7, 0x1ff, v6
	v_lshrrev_b32_e32 v8, 9, v7
	v_lshl_add_u32 v7, v8, 2, s0
	v_add_nc_u32_e32 v9, 1, v8
	ds_read_b32 v7, v7 offset:1024
	s_waitcnt lgkmcnt(0)
	v_cmp_lt_i32_e32 vcc_lo, v7, v5
	v_cndmask_b32_e32 v7, 0, v9, vcc_lo
	v_cndmask_b32_e32 v8, v8, v6, vcc_lo
	s_or_b32 exec_lo, exec_lo, s2
	s_mov_b32 s2, exec_lo
	v_cmpx_lt_i32_e64 v7, v8
	s_cbranch_execz .LBB29_58
.LBB29_62:
	v_sub_nc_u32_e32 v9, v7, v8
	v_lshl_add_u32 v9, v8, 7, v9
	v_ashrrev_i32_e32 v9, 7, v9
	v_lshl_add_u32 v10, v9, 2, s0
	v_add_nc_u32_e32 v11, 1, v9
	ds_read_b32 v10, v10 offset:1024
	s_waitcnt lgkmcnt(0)
	v_cmp_lt_i32_e32 vcc_lo, v10, v5
	v_cndmask_b32_e32 v7, v7, v11, vcc_lo
	v_cndmask_b32_e32 v8, v9, v8, vcc_lo
	s_or_b32 exec_lo, exec_lo, s2
	s_mov_b32 s2, exec_lo
	v_cmpx_lt_i32_e64 v7, v8
	s_cbranch_execz .LBB29_59
.LBB29_63:
	v_sub_nc_u32_e32 v9, v7, v8
	v_lshl_add_u32 v9, v8, 5, v9
	v_ashrrev_i32_e32 v9, 5, v9
	v_lshl_add_u32 v10, v9, 2, s0
	v_add_nc_u32_e32 v11, 1, v9
	ds_read_b32 v10, v10 offset:1024
	s_waitcnt lgkmcnt(0)
	v_cmp_lt_i32_e32 vcc_lo, v10, v5
	v_cndmask_b32_e32 v7, v7, v11, vcc_lo
	v_cndmask_b32_e32 v8, v9, v8, vcc_lo
	s_or_b32 exec_lo, exec_lo, s2
	s_mov_b32 s2, exec_lo
	v_cmpx_lt_i32_e64 v7, v8
	s_cbranch_execz .LBB29_60
.LBB29_64:
	v_sub_nc_u32_e32 v9, v7, v8
	v_lshl_add_u32 v9, v8, 4, v9
	v_ashrrev_i32_e32 v9, 4, v9
	v_lshl_add_u32 v10, v9, 2, s0
	v_add_nc_u32_e32 v11, 1, v9
	ds_read_b32 v10, v10 offset:1024
	s_waitcnt lgkmcnt(0)
	v_cmp_lt_i32_e32 vcc_lo, v10, v5
	v_cndmask_b32_e32 v7, v7, v11, vcc_lo
	v_cndmask_b32_e32 v8, v9, v8, vcc_lo
	s_or_b32 exec_lo, exec_lo, s2
	s_mov_b32 s2, exec_lo
	v_cmpx_lt_i32_e64 v7, v8
	s_cbranch_execz .LBB29_68
.LBB29_65:
	s_mov_b32 s3, 0
.LBB29_66:                              ; =>This Inner Loop Header: Depth=1
	v_sub_nc_u32_e32 v9, v7, v8
	v_lshl_add_u32 v9, v8, 1, v9
	v_ashrrev_i32_e32 v9, 1, v9
	v_lshl_add_u32 v10, v9, 2, s0
	v_add_nc_u32_e32 v11, 1, v9
	ds_read_b32 v10, v10 offset:1024
	s_waitcnt lgkmcnt(0)
	v_cmp_lt_i32_e32 vcc_lo, v10, v5
	v_cndmask_b32_e32 v7, v7, v11, vcc_lo
	v_cndmask_b32_e32 v8, v9, v8, vcc_lo
	v_cmp_ge_i32_e32 vcc_lo, v7, v8
	s_or_b32 s3, vcc_lo, s3
	s_andn2_b32 exec_lo, exec_lo, s3
	s_cbranch_execnz .LBB29_66
; %bb.67:
	s_or_b32 exec_lo, exec_lo, s3
.LBB29_68:
	s_or_b32 exec_lo, exec_lo, s2
	v_sub_nc_u32_e32 v1, v1, v2
	v_sub_nc_u32_e32 v9, v6, v7
	s_mov_b32 s0, exec_lo
	v_add_nc_u32_e32 v8, v9, v1
	v_ashrrev_i32_e32 v1, 1, v8
	v_max_i32_e32 v1, v1, v9
	v_add3_u32 v7, v7, v1, 1
	v_min_i32_e32 v7, v7, v17
	v_sub_nc_u32_e32 v7, v7, v6
	v_mov_b32_e32 v6, 0
	v_cmpx_lt_i32_e32 0, v7
	s_cbranch_execz .LBB29_72
; %bb.69:
	v_mov_b32_e32 v6, 0
	s_mov_b32 s2, 0
.LBB29_70:                              ; =>This Inner Loop Header: Depth=1
	v_add_nc_u32_e32 v10, v6, v7
	v_lshrrev_b32_e32 v10, 1, v10
	v_lshl_add_u32 v11, v10, 2, v4
	v_add_nc_u32_e32 v12, 1, v10
	ds_read_b32 v11, v11 offset:1024
	s_waitcnt lgkmcnt(0)
	v_cmp_lt_i32_e32 vcc_lo, v5, v11
	v_cndmask_b32_e32 v6, v12, v6, vcc_lo
	v_cndmask_b32_e32 v7, v7, v10, vcc_lo
	v_cmp_ge_i32_e32 vcc_lo, v6, v7
	s_or_b32 s2, vcc_lo, s2
	s_andn2_b32 exec_lo, exec_lo, s2
	s_cbranch_execnz .LBB29_70
; %bb.71:
	s_or_b32 exec_lo, exec_lo, s2
.LBB29_72:
	s_or_b32 exec_lo, exec_lo, s0
	v_add_nc_u32_e32 v4, v6, v9
	s_waitcnt lgkmcnt(0)
	v_min_i32_e32 v5, v4, v1
	v_cmp_lt_i32_e32 vcc_lo, v1, v4
	v_sub_nc_u32_e32 v6, v8, v5
	v_add_nc_u32_e32 v5, 1, v5
	v_add_nc_u32_e32 v1, v6, v2
	v_cmp_eq_u32_e64 s0, v6, v5
	s_and_b32 s0, vcc_lo, s0
	v_cndmask_b32_e64 v4, 0, 1, s0
.LBB29_73:
	s_or_b32 exec_lo, exec_lo, s1
	v_add_nc_u32_e32 v2, v4, v3
	s_lshl_b32 s0, s23, 16
	v_lshlrev_b32_e32 v7, 2, v1
	v_or_b32_e32 v3, s0, v17
	v_sub_co_u32 v5, s0, v0, 1
	v_sub_nc_u32_e32 v2, v2, v1
	v_mov_b32_e32 v6, v1
	s_mov_b32 s1, exec_lo
	v_cndmask_b32_e64 v5, v5, 0xff, s0
	v_lshl_or_b32 v4, v1, 16, v2
	v_lshlrev_b32_e32 v5, 2, v5
	v_cndmask_b32_e64 v4, v4, v3, s0
	v_add_nc_u32_e32 v3, s23, v2
	ds_write_b32 v5, v4 offset:18432
	v_lshlrev_b32_e32 v8, 2, v3
	s_waitcnt lgkmcnt(0)
	s_barrier
	buffer_gl0_inv
	ds_read_b32 v25, v7 offset:19456
	ds_read_b32 v4, v8 offset:19456
	ds_read_b32 v5, v23
	s_waitcnt lgkmcnt(2)
	v_mov_b32_e32 v24, v25
	s_waitcnt lgkmcnt(1)
	v_cmpx_ge_i32_e64 v4, v25
; %bb.74:
	v_add_nc_u32_e32 v6, 0x4800, v7
	ds_read_b32 v24, v6 offset:1028
	v_add_nc_u32_e32 v6, 1, v1
; %bb.75:
	s_or_b32 exec_lo, exec_lo, s1
	v_mov_b32_e32 v7, v4
	s_mov_b32 s1, exec_lo
	v_cmpx_ge_i32_e64 v25, v4
; %bb.76:
	v_add_nc_u32_e32 v7, 0x4800, v8
	v_add_nc_u32_e32 v3, 1, v3
	ds_read_b32 v7, v7 offset:1028
; %bb.77:
	s_or_b32 exec_lo, exec_lo, s1
	s_waitcnt lgkmcnt(0)
	v_mov_b32_e32 v26, v24
	v_mov_b32_e32 v8, v6
	s_mov_b32 s1, exec_lo
	v_cmpx_ge_i32_e64 v7, v24
; %bb.78:
	v_lshlrev_b32_e32 v8, 2, v6
	ds_read_b32 v26, v8 offset:19460
	v_add_nc_u32_e32 v8, 1, v6
; %bb.79:
	s_or_b32 exec_lo, exec_lo, s1
	v_mov_b32_e32 v9, v7
	v_mov_b32_e32 v10, v3
	s_mov_b32 s1, exec_lo
	v_cmpx_ge_i32_e64 v24, v7
; %bb.80:
	v_lshlrev_b32_e32 v9, 2, v3
	v_add_nc_u32_e32 v10, 1, v3
	ds_read_b32 v9, v9 offset:19460
; %bb.81:
	s_or_b32 exec_lo, exec_lo, s1
	s_waitcnt lgkmcnt(0)
	v_mov_b32_e32 v27, v26
	v_mov_b32_e32 v11, v8
	s_mov_b32 s1, exec_lo
	v_cmpx_ge_i32_e64 v9, v26
; %bb.82:
	v_lshlrev_b32_e32 v11, 2, v8
	ds_read_b32 v27, v11 offset:19460
	v_add_nc_u32_e32 v11, 1, v8
; %bb.83:
	s_or_b32 exec_lo, exec_lo, s1
	v_mov_b32_e32 v12, v9
	v_mov_b32_e32 v13, v10
	s_mov_b32 s1, exec_lo
	v_cmpx_ge_i32_e64 v26, v9
; %bb.84:
	v_lshlrev_b32_e32 v12, 2, v10
	v_add_nc_u32_e32 v13, 1, v10
	ds_read_b32 v12, v12 offset:19460
; %bb.85:
	s_or_b32 exec_lo, exec_lo, s1
	s_waitcnt lgkmcnt(0)
	v_mov_b32_e32 v28, v27
	v_mov_b32_e32 v14, v11
	s_mov_b32 s1, exec_lo
	v_cmpx_ge_i32_e64 v12, v27
; %bb.86:
	v_lshlrev_b32_e32 v14, 2, v11
	ds_read_b32 v28, v14 offset:19460
	v_add_nc_u32_e32 v14, 1, v11
; %bb.87:
	s_or_b32 exec_lo, exec_lo, s1
	v_mov_b32_e32 v15, v12
	v_mov_b32_e32 v16, v13
	s_mov_b32 s1, exec_lo
	v_cmpx_ge_i32_e64 v27, v12
; %bb.88:
	v_lshlrev_b32_e32 v15, 2, v13
	v_add_nc_u32_e32 v16, 1, v13
	ds_read_b32 v15, v15 offset:19460
; %bb.89:
	s_or_b32 exec_lo, exec_lo, s1
	s_waitcnt lgkmcnt(0)
	v_mov_b32_e32 v29, v28
	v_mov_b32_e32 v40, v14
	s_mov_b32 s1, exec_lo
	v_cmpx_ge_i32_e64 v15, v28
; %bb.90:
	v_lshlrev_b32_e32 v29, 2, v14
	v_add_nc_u32_e32 v40, 1, v14
	ds_read_b32 v29, v29 offset:19460
; %bb.91:
	s_or_b32 exec_lo, exec_lo, s1
	v_mov_b32_e32 v41, v15
	v_mov_b32_e32 v42, v16
	s_mov_b32 s1, exec_lo
	v_cmpx_ge_i32_e64 v28, v15
; %bb.92:
	v_lshlrev_b32_e32 v30, 2, v16
	v_add_nc_u32_e32 v42, 1, v16
	ds_read_b32 v41, v30 offset:19460
; %bb.93:
	s_or_b32 exec_lo, exec_lo, s1
	s_waitcnt lgkmcnt(0)
	v_mov_b32_e32 v30, v29
	v_mov_b32_e32 v43, v40
	s_mov_b32 s1, exec_lo
	v_cmpx_ge_i32_e64 v41, v29
; %bb.94:
	v_lshlrev_b32_e32 v30, 2, v40
	v_add_nc_u32_e32 v43, 1, v40
	ds_read_b32 v30, v30 offset:19460
; %bb.95:
	s_or_b32 exec_lo, exec_lo, s1
	v_mov_b32_e32 v44, v41
	v_mov_b32_e32 v45, v42
	s_mov_b32 s1, exec_lo
	v_cmpx_ge_i32_e64 v29, v41
; %bb.96:
	v_lshlrev_b32_e32 v31, 2, v42
	;; [unrolled: 21-line block ×11, first 2 shown]
	ds_read_b32 v72, v71 offset:19460
	v_add_nc_u32_e32 v71, 1, v68
; %bb.133:
	s_or_b32 exec_lo, exec_lo, s1
	v_add_nc_u32_sdwa v73, v5, s23 dst_sel:DWORD dst_unused:UNUSED_PAD src0_sel:WORD_0 src1_sel:DWORD
	v_cmp_ge_i32_sdwa s7, v64, sext(v5) src0_sel:DWORD src1_sel:WORD_1
	v_cmp_ge_i32_sdwa s10, v52, sext(v5) src0_sel:DWORD src1_sel:WORD_1
	;; [unrolled: 1-line block ×4, first 2 shown]
	v_cmp_ge_i32_e64 s4, v66, v73
	v_cmp_ge_i32_e64 s11, v42, v73
	v_cmp_ge_i32_sdwa s24, v11, sext(v5) src0_sel:DWORD src1_sel:WORD_1
	v_cmp_ge_i32_sdwa s17, v14, sext(v5) src0_sel:DWORD src1_sel:WORD_1
	;; [unrolled: 1-line block ×3, first 2 shown]
	s_or_b32 s27, s7, s4
	v_cmp_ge_i32_e64 s7, v54, v73
	s_or_b32 s36, s15, s11
	v_cmp_ge_i32_e64 s15, v13, v73
	v_cmp_ge_i32_e64 s16, v10, v73
	v_cmp_gt_i32_sdwa s40, sext(v5), v1 src0_sel:WORD_1 src1_sel:DWORD
	s_or_b32 s31, s10, s7
	v_cmp_ge_i32_e64 s10, v45, v73
	s_or_b32 s39, s24, s15
	v_cmp_ne_u32_e64 s15, v9, v26
	s_or_b32 s24, s37, s16
	v_cmp_ge_i32_sdwa s37, v6, sext(v5) src0_sel:DWORD src1_sel:WORD_1
	s_or_b32 s35, s14, s10
	v_cmp_ge_i32_e64 s14, v16, v73
	v_cmp_gt_i32_sdwa s41, v5, v2 src0_sel:WORD_0 src1_sel:DWORD
	v_cmp_ne_u32_e64 s16, v7, v24
	s_or_b32 s24, s15, s24
	v_cmp_eq_u32_e64 s15, v4, v25
	s_or_b32 s38, s17, s14
	v_cmp_ge_i32_e64 s17, v3, v73
	v_cmp_ge_i32_sdwa s5, v70, sext(v5) src0_sel:DWORD src1_sel:WORD_1
	v_cmp_ge_i32_e64 s2, v71, v73
	v_cmp_ge_i32_sdwa s6, v67, sext(v5) src0_sel:DWORD src1_sel:WORD_1
	v_cmp_ge_i32_e64 s3, v68, v73
	s_or_b32 s17, s37, s17
	s_and_b32 s37, s40, s41
	v_cmp_ne_u32_e64 s11, v15, v28
	v_cmp_ne_u32_e64 s14, v12, v27
	s_or_b32 s16, s16, s17
	s_and_b32 s15, s37, s15
	v_cmp_ge_i32_sdwa s8, v61, sext(v5) src0_sel:DWORD src1_sel:WORD_1
	s_or_b32 s25, s5, s2
	v_cmp_ge_i32_e64 s2, v63, v73
	v_cndmask_b32_e64 v1, 4, 0, s24
	v_cndmask_b32_e64 v2, 2, 0, s16
	v_cndmask_b32_e64 v3, 0, 1, s15
	s_or_b32 s26, s6, s3
	v_cmp_ge_i32_sdwa s9, v55, sext(v5) src0_sel:DWORD src1_sel:WORD_1
	v_cmp_ge_i32_e64 s6, v57, v73
	v_cmp_ne_u32_e64 s13, v44, v30
	v_cmp_ne_u32_e64 s10, v41, v29
	s_or_b32 s11, s11, s38
	s_or_b32 s14, s14, s39
	;; [unrolled: 1-line block ×3, first 2 shown]
	v_cmp_ge_i32_sdwa s8, v58, sext(v5) src0_sel:DWORD src1_sel:WORD_1
	v_cmp_ge_i32_sdwa s33, v49, sext(v5) src0_sel:DWORD src1_sel:WORD_1
	v_cmp_ge_i32_sdwa s34, v46, sext(v5) src0_sel:DWORD src1_sel:WORD_1
	v_cndmask_b32_e64 v4, 16, 0, s11
	v_cndmask_b32_e64 v5, 8, 0, s14
	v_or3_b32 v1, v2, v3, v1
	v_cmp_ge_i32_e64 s5, v60, v73
	v_cmp_ge_i32_e64 s12, v47, v73
	s_or_b32 s30, s9, s6
	v_cmp_ne_u32_e64 s9, v48, v31
	s_or_b32 s13, s13, s35
	s_or_b32 s10, s10, s36
	v_cndmask_b32_e64 v2, 64, 0, s13
	v_cndmask_b32_e64 v3, 32, 0, s10
	v_or3_b32 v1, v1, v5, v4
	s_or_b32 s29, s8, s5
	v_cmp_ne_u32_e64 s6, v53, v33
	v_cmp_ge_i32_e64 s8, v51, v73
	s_or_b32 s12, s34, s12
	v_cmp_ne_u32_e64 s7, v50, v32
	s_or_b32 s9, s9, s12
	v_or3_b32 v45, v1, v3, v2
	v_cndmask_b32_e64 v4, 0x80, 0, s9
	v_cmp_ne_u32_e64 s2, v59, v35
	s_or_b32 s8, s33, s8
	s_or_b32 s6, s6, s31
	v_cmp_ne_u32_e64 s5, v56, v34
	v_cndmask_b32_e64 v1, 0x200, 0, s6
	s_or_b32 s6, s7, s8
	v_or_b32_e32 v44, v4, v45
	v_cndmask_b32_e64 v2, 0x100, 0, s6
	v_cmp_ne_u32_e64 s3, v65, v37
	s_or_b32 s2, s2, s29
	v_cmp_ne_u32_e64 s4, v62, v36
	v_cndmask_b32_e64 v3, 0x800, 0, s2
	s_or_b32 s2, s5, s30
	v_or3_b32 v43, v2, v1, v44
	v_cndmask_b32_e64 v4, 0x400, 0, s2
	s_or_b32 s2, s3, s27
	s_waitcnt lgkmcnt(0)
	v_cmp_ne_u32_e32 vcc_lo, v72, v39
	v_cmp_ne_u32_e64 s1, v69, v38
	v_cndmask_b32_e64 v1, 0x2000, 0, s2
	s_or_b32 s2, s4, s28
	v_or3_b32 v42, v4, v3, v43
	v_cndmask_b32_e64 v2, 0x1000, 0, s2
	s_or_b32 s2, vcc_lo, s25
	s_or_b32 s1, s1, s26
	v_cndmask_b32_e64 v3, 0x8000, 0, s2
	v_cndmask_b32_e64 v4, 0x4000, 0, s1
	v_or3_b32 v41, v2, v1, v42
	v_mov_b32_e32 v10, 0
	s_mov_b32 s1, -1
	s_cmp_lg_u32 s22, 0
	v_or3_b32 v40, v4, v3, v41
	s_barrier
	buffer_gl0_inv
	v_bcnt_u32_b32 v9, v40, 0
	s_cbranch_scc0 .LBB29_191
; %bb.134:
	v_mbcnt_lo_u32_b32 v46, -1, 0
	v_mov_b32_e32 v1, v9
	v_mov_b32_dpp v7, v9 row_shr:1 row_mask:0xf bank_mask:0xf
	v_mov_b32_dpp v6, v10 row_shr:1 row_mask:0xf bank_mask:0xf
	v_mov_b32_e32 v4, v9
	v_and_b32_e32 v5, 15, v46
	v_mov_b32_e32 v3, v10
	v_mov_b32_e32 v2, v10
	s_mov_b32 s1, exec_lo
	v_cmpx_ne_u32_e32 0, v5
; %bb.135:
	v_add_co_u32 v4, s2, v7, v9
	v_add_co_ci_u32_e64 v1, null, 0, 0, s2
	v_add_co_u32 v2, vcc_lo, 0, v4
	v_add_co_ci_u32_e64 v3, null, v6, v1, vcc_lo
	v_mov_b32_e32 v1, v2
	v_mov_b32_e32 v2, v3
; %bb.136:
	s_or_b32 exec_lo, exec_lo, s1
	v_mov_b32_dpp v7, v4 row_shr:2 row_mask:0xf bank_mask:0xf
	v_mov_b32_dpp v6, v3 row_shr:2 row_mask:0xf bank_mask:0xf
	s_mov_b32 s1, exec_lo
	v_cmpx_lt_u32_e32 1, v5
; %bb.137:
	v_add_co_u32 v4, vcc_lo, v1, v7
	v_add_co_ci_u32_e64 v1, null, 0, v2, vcc_lo
	v_add_co_u32 v2, vcc_lo, 0, v4
	v_add_co_ci_u32_e64 v3, null, v6, v1, vcc_lo
	v_mov_b32_e32 v1, v2
	v_mov_b32_e32 v2, v3
; %bb.138:
	s_or_b32 exec_lo, exec_lo, s1
	v_mov_b32_dpp v7, v4 row_shr:4 row_mask:0xf bank_mask:0xf
	v_mov_b32_dpp v6, v3 row_shr:4 row_mask:0xf bank_mask:0xf
	s_mov_b32 s1, exec_lo
	v_cmpx_lt_u32_e32 3, v5
; %bb.139:
	v_add_co_u32 v4, vcc_lo, v1, v7
	v_add_co_ci_u32_e64 v1, null, 0, v2, vcc_lo
	;; [unrolled: 13-line block ×3, first 2 shown]
	v_add_co_u32 v1, vcc_lo, 0, v4
	v_add_co_ci_u32_e64 v2, null, v6, v2, vcc_lo
	v_mov_b32_e32 v3, v2
; %bb.142:
	s_or_b32 exec_lo, exec_lo, s1
	ds_swizzle_b32 v5, v4 offset:swizzle(BROADCAST,32,15)
	ds_swizzle_b32 v3, v3 offset:swizzle(BROADCAST,32,15)
	v_and_b32_e32 v6, 16, v46
	s_mov_b32 s1, exec_lo
	v_cmpx_ne_u32_e32 0, v6
	s_cbranch_execz .LBB29_144
; %bb.143:
	s_waitcnt lgkmcnt(1)
	v_add_co_u32 v4, vcc_lo, v1, v5
	v_add_co_ci_u32_e64 v2, null, 0, v2, vcc_lo
	v_add_co_u32 v1, vcc_lo, 0, v4
	s_waitcnt lgkmcnt(0)
	v_add_co_ci_u32_e64 v2, null, v3, v2, vcc_lo
.LBB29_144:
	s_or_b32 exec_lo, exec_lo, s1
	s_waitcnt lgkmcnt(0)
	v_or_b32_e32 v3, 31, v0
	v_lshrrev_b32_e32 v5, 5, v0
	v_cmp_eq_u32_e32 vcc_lo, v0, v3
	v_lshlrev_b32_e32 v3, 3, v5
	s_and_saveexec_b32 s1, vcc_lo
; %bb.145:
	ds_write_b64 v3, v[1:2] offset:18432
; %bb.146:
	s_or_b32 exec_lo, exec_lo, s1
	s_mov_b32 s1, exec_lo
	s_waitcnt lgkmcnt(0)
	s_barrier
	buffer_gl0_inv
	v_cmpx_gt_u32_e32 8, v0
	s_cbranch_execz .LBB29_154
; %bb.147:
	v_lshlrev_b32_e32 v6, 3, v0
	v_and_b32_e32 v5, 7, v46
	s_mov_b32 s2, exec_lo
	ds_read_b64 v[1:2], v6 offset:18432
	s_waitcnt lgkmcnt(0)
	v_mov_b32_dpp v11, v1 row_shr:1 row_mask:0xf bank_mask:0xf
	v_mov_b32_dpp v8, v2 row_shr:1 row_mask:0xf bank_mask:0xf
	v_mov_b32_e32 v7, v1
	v_cmpx_ne_u32_e32 0, v5
; %bb.148:
	v_add_co_u32 v7, vcc_lo, v1, v11
	v_add_co_ci_u32_e64 v2, null, 0, v2, vcc_lo
	v_add_co_u32 v1, vcc_lo, 0, v7
	v_add_co_ci_u32_e64 v2, null, v8, v2, vcc_lo
; %bb.149:
	s_or_b32 exec_lo, exec_lo, s2
	v_mov_b32_dpp v11, v7 row_shr:2 row_mask:0xf bank_mask:0xf
	v_mov_b32_dpp v8, v2 row_shr:2 row_mask:0xf bank_mask:0xf
	s_mov_b32 s2, exec_lo
	v_cmpx_lt_u32_e32 1, v5
; %bb.150:
	v_add_co_u32 v7, vcc_lo, v1, v11
	v_add_co_ci_u32_e64 v2, null, 0, v2, vcc_lo
	v_add_co_u32 v1, vcc_lo, 0, v7
	v_add_co_ci_u32_e64 v2, null, v8, v2, vcc_lo
; %bb.151:
	s_or_b32 exec_lo, exec_lo, s2
	v_or_b32_e32 v6, 0x4800, v6
	v_mov_b32_dpp v8, v7 row_shr:4 row_mask:0xf bank_mask:0xf
	v_mov_b32_dpp v7, v2 row_shr:4 row_mask:0xf bank_mask:0xf
	s_mov_b32 s2, exec_lo
	v_cmpx_lt_u32_e32 3, v5
; %bb.152:
	v_add_co_u32 v1, vcc_lo, v1, v8
	v_add_co_ci_u32_e64 v2, null, 0, v2, vcc_lo
	v_add_co_u32 v1, vcc_lo, v1, 0
	v_add_co_ci_u32_e64 v2, null, v2, v7, vcc_lo
; %bb.153:
	s_or_b32 exec_lo, exec_lo, s2
	ds_write_b64 v6, v[1:2]
.LBB29_154:
	s_or_b32 exec_lo, exec_lo, s1
	s_mov_b32 s2, exec_lo
	v_cmp_gt_u32_e32 vcc_lo, 32, v0
	s_waitcnt lgkmcnt(0)
	s_barrier
	buffer_gl0_inv
                                        ; implicit-def: $vgpr11_vgpr12
	v_cmpx_lt_u32_e32 31, v0
	s_cbranch_execz .LBB29_156
; %bb.155:
	ds_read_b64 v[11:12], v3 offset:18424
	s_waitcnt lgkmcnt(0)
	v_add_nc_u32_e32 v4, v4, v11
.LBB29_156:
	s_or_b32 exec_lo, exec_lo, s2
	v_sub_co_u32 v1, s1, v46, 1
	v_cmp_gt_i32_e64 s2, 0, v1
	v_cndmask_b32_e64 v1, v1, v46, s2
	v_lshlrev_b32_e32 v1, 2, v1
	ds_bpermute_b32 v47, v1, v4
	s_and_saveexec_b32 s2, vcc_lo
	s_cbranch_execz .LBB29_196
; %bb.157:
	v_mov_b32_e32 v4, 0
	ds_read_b64 v[1:2], v4 offset:18488
	s_and_saveexec_b32 s3, s1
	s_cbranch_execz .LBB29_159
; %bb.158:
	s_add_i32 s4, s22, 32
	s_mov_b32 s5, 0
	v_mov_b32_e32 v3, 1
	s_lshl_b64 s[4:5], s[4:5], 4
	s_add_u32 s4, s20, s4
	s_addc_u32 s5, s21, s5
	v_mov_b32_e32 v6, s5
	v_mov_b32_e32 v5, s4
	s_waitcnt lgkmcnt(0)
	;;#ASMSTART
	global_store_dwordx4 v[5:6], v[1:4] off	
s_waitcnt vmcnt(0)
	;;#ASMEND
.LBB29_159:
	s_or_b32 exec_lo, exec_lo, s3
	v_xad_u32 v13, v46, -1, s22
	s_mov_b32 s4, 0
	v_add_nc_u32_e32 v3, 32, v13
	v_lshlrev_b64 v[5:6], 4, v[3:4]
	v_add_co_u32 v14, vcc_lo, s20, v5
	v_add_co_ci_u32_e64 v15, null, s21, v6, vcc_lo
	;;#ASMSTART
	global_load_dwordx4 v[5:8], v[14:15] off glc dlc	
s_waitcnt vmcnt(0)
	;;#ASMEND
	v_cmp_eq_u16_sdwa s5, v7, v4 src0_sel:BYTE_0 src1_sel:DWORD
	s_and_saveexec_b32 s3, s5
	s_cbranch_execz .LBB29_163
; %bb.160:
	v_mov_b32_e32 v3, 0
.LBB29_161:                             ; =>This Inner Loop Header: Depth=1
	;;#ASMSTART
	global_load_dwordx4 v[5:8], v[14:15] off glc dlc	
s_waitcnt vmcnt(0)
	;;#ASMEND
	v_cmp_ne_u16_sdwa s5, v7, v3 src0_sel:BYTE_0 src1_sel:DWORD
	s_or_b32 s4, s5, s4
	s_andn2_b32 exec_lo, exec_lo, s4
	s_cbranch_execnz .LBB29_161
; %bb.162:
	s_or_b32 exec_lo, exec_lo, s4
.LBB29_163:
	s_or_b32 exec_lo, exec_lo, s3
	v_cmp_ne_u32_e32 vcc_lo, 31, v46
	v_mov_b32_e32 v4, 2
	v_lshlrev_b32_e64 v49, v46, -1
	v_add_co_ci_u32_e64 v3, null, 0, v46, vcc_lo
	v_cmp_eq_u16_sdwa s3, v7, v4 src0_sel:BYTE_0 src1_sel:DWORD
	v_mov_b32_e32 v4, v5
	v_lshlrev_b32_e32 v48, 2, v3
	v_and_or_b32 v3, s3, v49, 0x80000000
	s_mov_b32 s3, exec_lo
	ds_bpermute_b32 v14, v48, v5
	ds_bpermute_b32 v8, v48, v6
	v_ffbl_b32_e32 v3, v3
	v_cmpx_lt_u32_e64 v46, v3
	s_cbranch_execz .LBB29_165
; %bb.164:
	s_waitcnt lgkmcnt(1)
	v_add_co_u32 v4, vcc_lo, v5, v14
	v_add_co_ci_u32_e64 v6, null, 0, v6, vcc_lo
	v_add_co_u32 v5, vcc_lo, 0, v4
	s_waitcnt lgkmcnt(0)
	v_add_co_ci_u32_e64 v6, null, v8, v6, vcc_lo
.LBB29_165:
	s_or_b32 exec_lo, exec_lo, s3
	v_cmp_gt_u32_e32 vcc_lo, 30, v46
	v_add_nc_u32_e32 v51, 2, v46
	s_mov_b32 s3, exec_lo
	s_waitcnt lgkmcnt(0)
	v_cndmask_b32_e64 v8, 0, 2, vcc_lo
	v_add_lshl_u32 v50, v8, v46, 2
	ds_bpermute_b32 v14, v50, v4
	ds_bpermute_b32 v8, v50, v6
	v_cmpx_le_u32_e64 v51, v3
	s_cbranch_execz .LBB29_167
; %bb.166:
	s_waitcnt lgkmcnt(1)
	v_add_co_u32 v4, vcc_lo, v5, v14
	v_add_co_ci_u32_e64 v6, null, 0, v6, vcc_lo
	v_add_co_u32 v5, vcc_lo, 0, v4
	s_waitcnt lgkmcnt(0)
	v_add_co_ci_u32_e64 v6, null, v8, v6, vcc_lo
.LBB29_167:
	s_or_b32 exec_lo, exec_lo, s3
	v_cmp_gt_u32_e32 vcc_lo, 28, v46
	v_add_nc_u32_e32 v53, 4, v46
	s_mov_b32 s3, exec_lo
	s_waitcnt lgkmcnt(0)
	v_cndmask_b32_e64 v8, 0, 4, vcc_lo
	v_add_lshl_u32 v52, v8, v46, 2
	ds_bpermute_b32 v14, v52, v4
	ds_bpermute_b32 v8, v52, v6
	v_cmpx_le_u32_e64 v53, v3
	;; [unrolled: 19-line block ×3, first 2 shown]
	s_cbranch_execz .LBB29_171
; %bb.170:
	s_waitcnt lgkmcnt(1)
	v_add_co_u32 v4, vcc_lo, v5, v14
	v_add_co_ci_u32_e64 v6, null, 0, v6, vcc_lo
	v_add_co_u32 v5, vcc_lo, 0, v4
	s_waitcnt lgkmcnt(0)
	v_add_co_ci_u32_e64 v6, null, v8, v6, vcc_lo
.LBB29_171:
	s_or_b32 exec_lo, exec_lo, s3
	v_lshl_or_b32 v56, v46, 2, 64
	v_add_nc_u32_e32 v57, 16, v46
	s_mov_b32 s3, exec_lo
	s_waitcnt lgkmcnt(0)
	ds_bpermute_b32 v8, v56, v4
	ds_bpermute_b32 v4, v56, v6
	v_cmpx_le_u32_e64 v57, v3
	s_cbranch_execz .LBB29_173
; %bb.172:
	s_waitcnt lgkmcnt(1)
	v_add_co_u32 v3, vcc_lo, v5, v8
	v_add_co_ci_u32_e64 v6, null, 0, v6, vcc_lo
	v_add_co_u32 v5, vcc_lo, v3, 0
	s_waitcnt lgkmcnt(0)
	v_add_co_ci_u32_e64 v6, null, v6, v4, vcc_lo
.LBB29_173:
	s_or_b32 exec_lo, exec_lo, s3
	v_mov_b32_e32 v14, 0
	v_mov_b32_e32 v58, 2
	s_branch .LBB29_176
.LBB29_174:                             ;   in Loop: Header=BB29_176 Depth=1
	s_or_b32 exec_lo, exec_lo, s3
	v_add_co_u32 v5, vcc_lo, v5, v3
	v_subrev_nc_u32_e32 v13, 32, v13
	v_add_co_ci_u32_e64 v6, null, v6, v4, vcc_lo
	s_mov_b32 s3, 0
.LBB29_175:                             ;   in Loop: Header=BB29_176 Depth=1
	s_and_b32 vcc_lo, exec_lo, s3
	s_cbranch_vccnz .LBB29_192
.LBB29_176:                             ; =>This Loop Header: Depth=1
                                        ;     Child Loop BB29_179 Depth 2
	v_cmp_ne_u16_sdwa s3, v7, v58 src0_sel:BYTE_0 src1_sel:DWORD
	s_waitcnt lgkmcnt(0)
	v_mov_b32_e32 v3, v5
	v_mov_b32_e32 v4, v6
                                        ; implicit-def: $vgpr5_vgpr6
	s_cmp_lg_u32 s3, exec_lo
	s_mov_b32 s3, -1
	s_cbranch_scc1 .LBB29_175
; %bb.177:                              ;   in Loop: Header=BB29_176 Depth=1
	v_lshlrev_b64 v[5:6], 4, v[13:14]
	v_add_co_u32 v15, vcc_lo, s20, v5
	v_add_co_ci_u32_e64 v16, null, s21, v6, vcc_lo
	;;#ASMSTART
	global_load_dwordx4 v[5:8], v[15:16] off glc dlc	
s_waitcnt vmcnt(0)
	;;#ASMEND
	v_cmp_eq_u16_sdwa s4, v7, v14 src0_sel:BYTE_0 src1_sel:DWORD
	s_and_saveexec_b32 s3, s4
	s_cbranch_execz .LBB29_181
; %bb.178:                              ;   in Loop: Header=BB29_176 Depth=1
	s_mov_b32 s4, 0
.LBB29_179:                             ;   Parent Loop BB29_176 Depth=1
                                        ; =>  This Inner Loop Header: Depth=2
	;;#ASMSTART
	global_load_dwordx4 v[5:8], v[15:16] off glc dlc	
s_waitcnt vmcnt(0)
	;;#ASMEND
	v_cmp_ne_u16_sdwa s5, v7, v14 src0_sel:BYTE_0 src1_sel:DWORD
	s_or_b32 s4, s5, s4
	s_andn2_b32 exec_lo, exec_lo, s4
	s_cbranch_execnz .LBB29_179
; %bb.180:                              ;   in Loop: Header=BB29_176 Depth=1
	s_or_b32 exec_lo, exec_lo, s4
.LBB29_181:                             ;   in Loop: Header=BB29_176 Depth=1
	s_or_b32 exec_lo, exec_lo, s3
	ds_bpermute_b32 v59, v48, v5
	ds_bpermute_b32 v16, v48, v6
	v_cmp_eq_u16_sdwa s3, v7, v58 src0_sel:BYTE_0 src1_sel:DWORD
	v_mov_b32_e32 v15, v5
	v_and_or_b32 v8, s3, v49, 0x80000000
	s_mov_b32 s3, exec_lo
	v_ffbl_b32_e32 v8, v8
	v_cmpx_lt_u32_e64 v46, v8
	s_cbranch_execz .LBB29_183
; %bb.182:                              ;   in Loop: Header=BB29_176 Depth=1
	s_waitcnt lgkmcnt(1)
	v_add_co_u32 v15, vcc_lo, v5, v59
	v_add_co_ci_u32_e64 v6, null, 0, v6, vcc_lo
	v_add_co_u32 v5, vcc_lo, 0, v15
	s_waitcnt lgkmcnt(0)
	v_add_co_ci_u32_e64 v6, null, v16, v6, vcc_lo
.LBB29_183:                             ;   in Loop: Header=BB29_176 Depth=1
	s_or_b32 exec_lo, exec_lo, s3
	s_waitcnt lgkmcnt(1)
	ds_bpermute_b32 v59, v50, v15
	s_waitcnt lgkmcnt(1)
	ds_bpermute_b32 v16, v50, v6
	s_mov_b32 s3, exec_lo
	v_cmpx_le_u32_e64 v51, v8
	s_cbranch_execz .LBB29_185
; %bb.184:                              ;   in Loop: Header=BB29_176 Depth=1
	s_waitcnt lgkmcnt(1)
	v_add_co_u32 v15, vcc_lo, v5, v59
	v_add_co_ci_u32_e64 v6, null, 0, v6, vcc_lo
	v_add_co_u32 v5, vcc_lo, 0, v15
	s_waitcnt lgkmcnt(0)
	v_add_co_ci_u32_e64 v6, null, v16, v6, vcc_lo
.LBB29_185:                             ;   in Loop: Header=BB29_176 Depth=1
	s_or_b32 exec_lo, exec_lo, s3
	s_waitcnt lgkmcnt(1)
	ds_bpermute_b32 v59, v52, v15
	s_waitcnt lgkmcnt(1)
	ds_bpermute_b32 v16, v52, v6
	s_mov_b32 s3, exec_lo
	v_cmpx_le_u32_e64 v53, v8
	;; [unrolled: 16-line block ×3, first 2 shown]
	s_cbranch_execz .LBB29_189
; %bb.188:                              ;   in Loop: Header=BB29_176 Depth=1
	s_waitcnt lgkmcnt(1)
	v_add_co_u32 v15, vcc_lo, v5, v59
	v_add_co_ci_u32_e64 v6, null, 0, v6, vcc_lo
	v_add_co_u32 v5, vcc_lo, 0, v15
	s_waitcnt lgkmcnt(0)
	v_add_co_ci_u32_e64 v6, null, v16, v6, vcc_lo
.LBB29_189:                             ;   in Loop: Header=BB29_176 Depth=1
	s_or_b32 exec_lo, exec_lo, s3
	s_waitcnt lgkmcnt(0)
	ds_bpermute_b32 v16, v56, v15
	ds_bpermute_b32 v15, v56, v6
	s_mov_b32 s3, exec_lo
	v_cmpx_le_u32_e64 v57, v8
	s_cbranch_execz .LBB29_174
; %bb.190:                              ;   in Loop: Header=BB29_176 Depth=1
	s_waitcnt lgkmcnt(1)
	v_add_co_u32 v5, vcc_lo, v5, v16
	v_add_co_ci_u32_e64 v6, null, 0, v6, vcc_lo
	v_add_co_u32 v5, vcc_lo, v5, 0
	s_waitcnt lgkmcnt(0)
	v_add_co_ci_u32_e64 v6, null, v6, v15, vcc_lo
	s_branch .LBB29_174
.LBB29_191:
                                        ; implicit-def: $vgpr1_vgpr2
                                        ; implicit-def: $vgpr5_vgpr6
	s_and_b32 vcc_lo, exec_lo, s1
	s_movk_i32 s6, 0x4840
	s_cbranch_vccnz .LBB29_197
	s_branch .LBB29_220
.LBB29_192:
	s_and_saveexec_b32 s3, s1
	s_cbranch_execz .LBB29_194
; %bb.193:
	s_add_i32 s4, s22, 32
	s_mov_b32 s5, 0
	v_add_co_u32 v5, vcc_lo, v3, v1
	s_lshl_b64 s[4:5], s[4:5], 4
	v_mov_b32_e32 v8, 0
	s_add_u32 s4, s20, s4
	s_addc_u32 s5, s21, s5
	v_add_co_ci_u32_e64 v6, null, v4, v2, vcc_lo
	v_mov_b32_e32 v14, s5
	v_mov_b32_e32 v7, 2
	;; [unrolled: 1-line block ×3, first 2 shown]
	;;#ASMSTART
	global_store_dwordx4 v[13:14], v[5:8] off	
s_waitcnt vmcnt(0)
	;;#ASMEND
	ds_write_b128 v8, v[1:4] offset:18496
.LBB29_194:
	s_or_b32 exec_lo, exec_lo, s3
	s_and_b32 exec_lo, exec_lo, s0
; %bb.195:
	v_mov_b32_e32 v1, 0
	ds_write_b64 v1, v[3:4] offset:18488
.LBB29_196:
	s_or_b32 exec_lo, exec_lo, s2
	v_mov_b32_e32 v1, 0
	s_waitcnt lgkmcnt(0)
	s_barrier
	buffer_gl0_inv
	v_cndmask_b32_e64 v5, v47, v11, s1
	ds_read_b64 v[3:4], v1 offset:18488
	s_waitcnt lgkmcnt(0)
	s_barrier
	buffer_gl0_inv
	ds_read_b64 v[1:2], v1 offset:18504
	v_cndmask_b32_e64 v6, 0, v12, s1
	v_cndmask_b32_e64 v5, v5, 0, s0
	;; [unrolled: 1-line block ×3, first 2 shown]
	v_add_co_u32 v5, vcc_lo, v3, v5
	v_add_co_ci_u32_e64 v3, null, v4, v6, vcc_lo
	s_movk_i32 s6, 0x4840
	s_branch .LBB29_220
.LBB29_197:
	v_mbcnt_lo_u32_b32 v5, -1, 0
	v_mov_b32_e32 v3, 0
	s_waitcnt lgkmcnt(0)
	v_mov_b32_e32 v1, v9
	v_mov_b32_dpp v7, v9 row_shr:1 row_mask:0xf bank_mask:0xf
	v_mov_b32_e32 v2, v10
	v_and_b32_e32 v4, 15, v5
	v_mov_b32_dpp v6, v3 row_shr:1 row_mask:0xf bank_mask:0xf
	s_mov_b32 s1, exec_lo
	v_cmpx_ne_u32_e32 0, v4
; %bb.198:
	v_add_co_u32 v9, s2, v7, v9
	v_add_co_ci_u32_e64 v1, null, 0, 0, s2
	v_add_co_u32 v2, vcc_lo, 0, v9
	v_add_co_ci_u32_e64 v3, null, v6, v1, vcc_lo
	v_mov_b32_e32 v1, v2
	v_mov_b32_e32 v2, v3
; %bb.199:
	s_or_b32 exec_lo, exec_lo, s1
	v_mov_b32_dpp v7, v9 row_shr:2 row_mask:0xf bank_mask:0xf
	v_mov_b32_dpp v6, v3 row_shr:2 row_mask:0xf bank_mask:0xf
	s_mov_b32 s1, exec_lo
	v_cmpx_lt_u32_e32 1, v4
; %bb.200:
	v_add_co_u32 v9, vcc_lo, v1, v7
	v_add_co_ci_u32_e64 v1, null, 0, v2, vcc_lo
	v_add_co_u32 v2, vcc_lo, 0, v9
	v_add_co_ci_u32_e64 v3, null, v6, v1, vcc_lo
	v_mov_b32_e32 v1, v2
	v_mov_b32_e32 v2, v3
; %bb.201:
	s_or_b32 exec_lo, exec_lo, s1
	v_mov_b32_dpp v7, v9 row_shr:4 row_mask:0xf bank_mask:0xf
	v_mov_b32_dpp v6, v3 row_shr:4 row_mask:0xf bank_mask:0xf
	s_mov_b32 s1, exec_lo
	v_cmpx_lt_u32_e32 3, v4
; %bb.202:
	v_add_co_u32 v9, vcc_lo, v1, v7
	v_add_co_ci_u32_e64 v1, null, 0, v2, vcc_lo
	;; [unrolled: 13-line block ×3, first 2 shown]
	v_add_co_u32 v1, vcc_lo, 0, v9
	v_add_co_ci_u32_e64 v2, null, v6, v2, vcc_lo
	v_mov_b32_e32 v3, v2
; %bb.205:
	s_or_b32 exec_lo, exec_lo, s1
	ds_swizzle_b32 v4, v9 offset:swizzle(BROADCAST,32,15)
	ds_swizzle_b32 v3, v3 offset:swizzle(BROADCAST,32,15)
	v_and_b32_e32 v6, 16, v5
	s_mov_b32 s1, exec_lo
	v_cmpx_ne_u32_e32 0, v6
	s_cbranch_execz .LBB29_207
; %bb.206:
	s_waitcnt lgkmcnt(1)
	v_add_co_u32 v9, vcc_lo, v1, v4
	v_add_co_ci_u32_e64 v2, null, 0, v2, vcc_lo
	v_add_co_u32 v1, vcc_lo, 0, v9
	s_waitcnt lgkmcnt(0)
	v_add_co_ci_u32_e64 v2, null, v3, v2, vcc_lo
.LBB29_207:
	s_or_b32 exec_lo, exec_lo, s1
	s_waitcnt lgkmcnt(1)
	v_lshrrev_b32_e32 v4, 5, v0
	s_waitcnt lgkmcnt(0)
	v_or_b32_e32 v3, 31, v0
	s_mov_b32 s1, exec_lo
	v_lshlrev_b32_e32 v6, 3, v4
	v_cmpx_eq_u32_e64 v0, v3
; %bb.208:
	ds_write_b64 v6, v[1:2] offset:18432
; %bb.209:
	s_or_b32 exec_lo, exec_lo, s1
	s_mov_b32 s1, exec_lo
	s_waitcnt lgkmcnt(0)
	s_barrier
	buffer_gl0_inv
	v_cmpx_gt_u32_e32 8, v0
	s_cbranch_execz .LBB29_217
; %bb.210:
	v_add_nc_u32_e32 v3, v23, v22
	v_and_b32_e32 v4, 7, v5
	s_mov_b32 s2, exec_lo
	ds_read_b64 v[1:2], v3
	s_waitcnt lgkmcnt(0)
	v_mov_b32_dpp v10, v1 row_shr:1 row_mask:0xf bank_mask:0xf
	v_mov_b32_dpp v8, v2 row_shr:1 row_mask:0xf bank_mask:0xf
	v_mov_b32_e32 v7, v1
	v_cmpx_ne_u32_e32 0, v4
; %bb.211:
	v_add_co_u32 v7, vcc_lo, v1, v10
	v_add_co_ci_u32_e64 v2, null, 0, v2, vcc_lo
	v_add_co_u32 v1, vcc_lo, 0, v7
	v_add_co_ci_u32_e64 v2, null, v8, v2, vcc_lo
; %bb.212:
	s_or_b32 exec_lo, exec_lo, s2
	v_mov_b32_dpp v10, v7 row_shr:2 row_mask:0xf bank_mask:0xf
	v_mov_b32_dpp v8, v2 row_shr:2 row_mask:0xf bank_mask:0xf
	s_mov_b32 s2, exec_lo
	v_cmpx_lt_u32_e32 1, v4
; %bb.213:
	v_add_co_u32 v7, vcc_lo, v1, v10
	v_add_co_ci_u32_e64 v2, null, 0, v2, vcc_lo
	v_add_co_u32 v1, vcc_lo, 0, v7
	v_add_co_ci_u32_e64 v2, null, v8, v2, vcc_lo
; %bb.214:
	s_or_b32 exec_lo, exec_lo, s2
	v_mov_b32_dpp v8, v7 row_shr:4 row_mask:0xf bank_mask:0xf
	v_mov_b32_dpp v7, v2 row_shr:4 row_mask:0xf bank_mask:0xf
	s_mov_b32 s2, exec_lo
	v_cmpx_lt_u32_e32 3, v4
; %bb.215:
	v_add_co_u32 v1, vcc_lo, v1, v8
	v_add_co_ci_u32_e64 v2, null, 0, v2, vcc_lo
	v_add_co_u32 v1, vcc_lo, v1, 0
	v_add_co_ci_u32_e64 v2, null, v2, v7, vcc_lo
; %bb.216:
	s_or_b32 exec_lo, exec_lo, s2
	ds_write_b64 v3, v[1:2]
.LBB29_217:
	s_or_b32 exec_lo, exec_lo, s1
	v_mov_b32_e32 v1, 0
	v_mov_b32_e32 v2, 0
	s_mov_b32 s1, exec_lo
	v_mov_b32_e32 v3, 0
	v_mov_b32_e32 v4, 0
	s_waitcnt lgkmcnt(0)
	s_barrier
	buffer_gl0_inv
	v_cmpx_lt_u32_e32 31, v0
; %bb.218:
	ds_read_b64 v[3:4], v6 offset:18424
; %bb.219:
	s_or_b32 exec_lo, exec_lo, s1
	s_waitcnt lgkmcnt(0)
	v_sub_co_u32 v4, vcc_lo, v5, 1
	s_movk_i32 s6, 0x4838
	v_cmp_gt_i32_e64 s1, 0, v4
	v_cndmask_b32_e64 v4, v4, v5, s1
	v_add_nc_u32_e32 v5, v9, v3
	v_lshlrev_b32_e32 v4, 2, v4
	ds_bpermute_b32 v4, v4, v5
	s_waitcnt lgkmcnt(0)
	v_cndmask_b32_e32 v5, v4, v3, vcc_lo
.LBB29_220:
	v_mov_b32_e32 v3, s6
	s_waitcnt lgkmcnt(0)
	v_sub_nc_u32_e32 v5, v5, v1
	s_xor_b32 s1, s10, -1
	s_xor_b32 s2, s11, -1
	;; [unrolled: 1-line block ×3, first 2 shown]
	ds_read_b64 v[3:4], v3
	s_xor_b32 s4, s24, -1
	s_xor_b32 s5, s16, -1
	s_waitcnt lgkmcnt(0)
	s_barrier
	buffer_gl0_inv
	s_and_saveexec_b32 s6, s15
	s_cbranch_execnz .LBB29_262
; %bb.221:
	s_or_b32 exec_lo, exec_lo, s6
	s_and_saveexec_b32 s6, s5
	s_cbranch_execnz .LBB29_263
.LBB29_222:
	s_or_b32 exec_lo, exec_lo, s6
	s_and_saveexec_b32 s5, s4
	s_cbranch_execnz .LBB29_264
.LBB29_223:
	s_or_b32 exec_lo, exec_lo, s5
	s_and_saveexec_b32 s4, s3
	s_cbranch_execnz .LBB29_265
.LBB29_224:
	s_or_b32 exec_lo, exec_lo, s4
	s_and_saveexec_b32 s3, s2
	s_cbranch_execnz .LBB29_266
.LBB29_225:
	s_or_b32 exec_lo, exec_lo, s3
	s_and_saveexec_b32 s2, s1
.LBB29_226:
	v_lshlrev_b32_e32 v6, 2, v5
	v_add_nc_u32_e32 v5, 1, v5
	ds_write_b32 v6, v29 offset:19456
.LBB29_227:
	s_or_b32 exec_lo, exec_lo, s2
	v_and_b32_e32 v6, 64, v45
	s_mov_b32 s1, exec_lo
	v_cmpx_ne_u32_e32 0, v6
; %bb.228:
	v_lshlrev_b32_e32 v6, 2, v5
	v_add_nc_u32_e32 v5, 1, v5
	ds_write_b32 v6, v30 offset:19456
; %bb.229:
	s_or_b32 exec_lo, exec_lo, s1
	v_and_b32_e32 v6, 0x80, v44
	s_mov_b32 s1, exec_lo
	v_cmpx_ne_u32_e32 0, v6
; %bb.230:
	v_lshlrev_b32_e32 v6, 2, v5
	v_add_nc_u32_e32 v5, 1, v5
	ds_write_b32 v6, v31 offset:19456
; %bb.231:
	;; [unrolled: 9-line block ×9, first 2 shown]
	s_or_b32 exec_lo, exec_lo, s1
	v_and_b32_e32 v6, 0x8000, v40
	s_mov_b32 s1, exec_lo
	v_cmpx_ne_u32_e32 0, v6
; %bb.246:
	v_lshlrev_b32_e32 v5, 2, v5
	ds_write_b32 v5, v39 offset:19456
; %bb.247:
	s_or_b32 exec_lo, exec_lo, s1
	s_waitcnt lgkmcnt(0)
	s_barrier
	buffer_gl0_inv
	s_and_saveexec_b32 s1, s0
	s_cbranch_execz .LBB29_249
; %bb.248:
	v_add_co_u32 v1, vcc_lo, v3, v1
	v_mov_b32_e32 v5, 0
	v_add_co_ci_u32_e64 v2, null, v4, v2, vcc_lo
	global_store_dwordx2 v5, v[1:2], s[18:19]
.LBB29_249:
	s_or_b32 exec_lo, exec_lo, s1
	s_branch .LBB29_6
.LBB29_250:
	v_mov_b32_e32 v2, 0
	v_subrev_nc_u32_e32 v1, s23, v0
	v_lshlrev_b32_e32 v22, 2, v0
	v_or_b32_e32 v9, 0x100, v0
	v_or_b32_e32 v10, 0x200, v0
	;; [unrolled: 1-line block ×3, first 2 shown]
	v_lshlrev_b64 v[5:6], 2, v[1:2]
	v_add_co_u32 v3, vcc_lo, v20, v22
	v_subrev_nc_u32_e32 v1, s23, v9
	v_add_co_ci_u32_e64 v4, null, 0, v21, vcc_lo
	v_add_co_u32 v5, vcc_lo, v18, v5
	v_add_co_ci_u32_e64 v6, null, v19, v6, vcc_lo
	v_cmp_gt_i32_e32 vcc_lo, s23, v0
	v_lshlrev_b64 v[7:8], 2, v[1:2]
	v_subrev_nc_u32_e32 v1, s23, v10
	v_or_b32_e32 v28, 0x800, v0
	v_or_b32_e32 v32, 0xd00, v0
	v_cndmask_b32_e32 v6, v6, v4, vcc_lo
	v_cndmask_b32_e32 v5, v5, v3, vcc_lo
	v_add_co_u32 v11, vcc_lo, 0x400, v3
	v_add_co_ci_u32_e64 v12, null, 0, v4, vcc_lo
	v_add_co_u32 v13, vcc_lo, v18, v7
	v_add_co_ci_u32_e64 v14, null, v19, v8, vcc_lo
	v_lshlrev_b64 v[7:8], 2, v[1:2]
	v_add_co_u32 v1, s0, 0x800, v3
	v_cmp_gt_i32_e32 vcc_lo, s23, v9
	v_add_co_ci_u32_e64 v9, null, 0, v4, s0
	v_add_co_u32 v15, s0, v18, v7
	v_add_co_ci_u32_e64 v16, null, v19, v8, s0
	v_cmp_gt_i32_e64 s0, s23, v10
	v_cndmask_b32_e32 v8, v14, v12, vcc_lo
	v_cndmask_b32_e32 v7, v13, v11, vcc_lo
	v_add_co_u32 v11, vcc_lo, 0xc00, v3
	v_cndmask_b32_e64 v10, v16, v9, s0
	v_cndmask_b32_e64 v9, v15, v1, s0
	v_subrev_nc_u32_e32 v1, s23, v23
	global_load_dword v6, v[5:6], off
	global_load_dword v7, v[7:8], off
	;; [unrolled: 1-line block ×3, first 2 shown]
	v_or_b32_e32 v10, 0x400, v0
	v_add_co_ci_u32_e64 v12, null, 0, v4, vcc_lo
	v_lshlrev_b64 v[8:9], 2, v[1:2]
	v_subrev_nc_u32_e32 v1, s23, v10
	v_lshlrev_b32_e32 v13, 2, v10
	v_add_co_u32 v14, vcc_lo, v18, v8
	v_add_co_ci_u32_e64 v15, null, v19, v9, vcc_lo
	v_lshlrev_b64 v[8:9], 2, v[1:2]
	v_cmp_gt_i32_e32 vcc_lo, s23, v23
	v_or_b32_e32 v23, 0x500, v0
	v_add_co_u32 v13, s0, v20, v13
	v_add_co_ci_u32_e64 v16, null, 0, v21, s0
	v_add_co_u32 v24, s0, v18, v8
	v_add_co_ci_u32_e64 v25, null, v19, v9, s0
	v_cmp_gt_i32_e64 s0, s23, v10
	v_subrev_nc_u32_e32 v1, s23, v23
	v_cndmask_b32_e32 v9, v15, v12, vcc_lo
	v_cndmask_b32_e32 v8, v14, v11, vcc_lo
	v_add_co_u32 v14, vcc_lo, 0x1400, v3
	v_cndmask_b32_e64 v10, v24, v13, s0
	v_lshlrev_b64 v[12:13], 2, v[1:2]
	v_cndmask_b32_e64 v11, v25, v16, s0
	v_or_b32_e32 v16, 0x600, v0
	v_add_co_ci_u32_e64 v15, null, 0, v4, vcc_lo
	global_load_dword v8, v[8:9], off
	global_load_dword v9, v[10:11], off
	v_add_co_u32 v12, vcc_lo, v18, v12
	v_add_co_ci_u32_e64 v13, null, v19, v13, vcc_lo
	v_cmp_gt_i32_e32 vcc_lo, s23, v23
	v_subrev_nc_u32_e32 v1, s23, v16
	v_cndmask_b32_e32 v10, v12, v14, vcc_lo
	v_or_b32_e32 v14, 0x700, v0
	v_cndmask_b32_e32 v11, v13, v15, vcc_lo
	v_lshlrev_b64 v[12:13], 2, v[1:2]
	v_add_co_u32 v15, vcc_lo, 0x1800, v3
	v_subrev_nc_u32_e32 v1, s23, v14
	v_add_co_ci_u32_e64 v23, null, 0, v4, vcc_lo
	v_add_co_u32 v24, vcc_lo, v18, v12
	v_add_co_ci_u32_e64 v25, null, v19, v13, vcc_lo
	v_lshlrev_b64 v[12:13], 2, v[1:2]
	v_add_co_u32 v1, s0, 0x1c00, v3
	v_cmp_gt_i32_e32 vcc_lo, s23, v16
	v_add_co_ci_u32_e64 v16, null, 0, v4, s0
	v_add_co_u32 v26, s0, v18, v12
	v_add_co_ci_u32_e64 v27, null, v19, v13, s0
	v_cmp_gt_i32_e64 s0, s23, v14
	v_cndmask_b32_e32 v12, v24, v15, vcc_lo
	v_cndmask_b32_e32 v13, v25, v23, vcc_lo
	global_load_dword v10, v[10:11], off
	global_load_dword v11, v[12:13], off
	v_cndmask_b32_e64 v15, v27, v16, s0
	v_cndmask_b32_e64 v14, v26, v1, s0
	v_subrev_nc_u32_e32 v1, s23, v28
	v_lshlrev_b32_e32 v16, 2, v28
	v_add_co_u32 v26, s0, 0x2400, v3
	global_load_dword v12, v[14:15], off
	v_lshlrev_b64 v[13:14], 2, v[1:2]
	v_or_b32_e32 v15, 0x900, v0
	v_add_co_u32 v16, vcc_lo, v20, v16
	v_add_co_ci_u32_e64 v23, null, 0, v21, vcc_lo
	v_subrev_nc_u32_e32 v1, s23, v15
	v_add_co_u32 v24, vcc_lo, v18, v13
	v_add_co_ci_u32_e64 v25, null, v19, v14, vcc_lo
	v_cmp_gt_i32_e32 vcc_lo, s23, v28
	v_or_b32_e32 v28, 0xa00, v0
	v_lshlrev_b64 v[13:14], 2, v[1:2]
	v_add_co_ci_u32_e64 v27, null, 0, v4, s0
	v_subrev_nc_u32_e32 v1, s23, v28
	v_add_co_u32 v29, s0, v18, v13
	v_add_co_ci_u32_e64 v30, null, v19, v14, s0
	v_cmp_gt_i32_e64 s0, s23, v15
	v_cndmask_b32_e32 v14, v25, v23, vcc_lo
	v_cndmask_b32_e32 v13, v24, v16, vcc_lo
	v_lshlrev_b64 v[23:24], 2, v[1:2]
	v_add_co_u32 v25, vcc_lo, 0x2800, v3
	v_cndmask_b32_e64 v16, v30, v27, s0
	v_or_b32_e32 v27, 0xb00, v0
	v_cndmask_b32_e64 v15, v29, v26, s0
	v_add_co_ci_u32_e64 v26, null, 0, v4, vcc_lo
	v_add_co_u32 v23, vcc_lo, v18, v23
	v_add_co_ci_u32_e64 v24, null, v19, v24, vcc_lo
	v_cmp_gt_i32_e32 vcc_lo, s23, v28
	v_subrev_nc_u32_e32 v1, s23, v27
	global_load_dword v13, v[13:14], off
	global_load_dword v14, v[15:16], off
	v_cndmask_b32_e32 v15, v23, v25, vcc_lo
	v_or_b32_e32 v25, 0xc00, v0
	v_cndmask_b32_e32 v16, v24, v26, vcc_lo
	v_lshlrev_b64 v[23:24], 2, v[1:2]
	v_add_co_u32 v26, vcc_lo, 0x2c00, v3
	v_subrev_nc_u32_e32 v1, s23, v25
	v_add_co_ci_u32_e64 v28, null, 0, v4, vcc_lo
	v_add_co_u32 v30, vcc_lo, v18, v23
	v_lshlrev_b32_e32 v29, 2, v25
	v_add_co_ci_u32_e64 v31, null, v19, v24, vcc_lo
	v_lshlrev_b64 v[23:24], 2, v[1:2]
	v_cmp_gt_i32_e32 vcc_lo, s23, v27
	v_add_co_u32 v27, s0, v20, v29
	v_subrev_nc_u32_e32 v1, s23, v32
	v_add_co_ci_u32_e64 v29, null, 0, v21, s0
	v_add_co_u32 v23, s0, v18, v23
	v_cndmask_b32_e32 v21, v31, v28, vcc_lo
	v_or_b32_e32 v28, 0xe00, v0
	v_add_co_ci_u32_e64 v24, null, v19, v24, s0
	v_cndmask_b32_e32 v20, v30, v26, vcc_lo
	v_cmp_gt_i32_e32 vcc_lo, s23, v25
	v_lshlrev_b64 v[25:26], 2, v[1:2]
	v_subrev_nc_u32_e32 v1, s23, v28
	v_cndmask_b32_e32 v24, v24, v29, vcc_lo
	v_add_co_u32 v29, s0, 0x3400, v3
	v_add_co_ci_u32_e64 v30, null, 0, v4, s0
	v_add_co_u32 v31, s0, v18, v25
	v_add_co_ci_u32_e64 v33, null, v19, v26, s0
	v_lshlrev_b64 v[25:26], 2, v[1:2]
	v_add_co_u32 v1, s1, 0x3800, v3
	v_cmp_gt_i32_e64 s0, s23, v32
	v_add_co_ci_u32_e64 v32, null, 0, v4, s1
	v_add_co_u32 v34, s1, v18, v25
	v_add_co_ci_u32_e64 v35, null, v19, v26, s1
	v_cmp_gt_i32_e64 s1, s23, v28
	v_cndmask_b32_e32 v23, v23, v27, vcc_lo
	v_cndmask_b32_e64 v26, v33, v30, s0
	v_cndmask_b32_e64 v25, v31, v29, s0
	s_mov_b32 s0, exec_lo
	v_cndmask_b32_e64 v28, v35, v32, s1
	v_cndmask_b32_e64 v27, v34, v1, s1
	global_load_dword v15, v[15:16], off
	global_load_dword v16, v[20:21], off
	;; [unrolled: 1-line block ×5, first 2 shown]
	v_or_b32_e32 v24, 0xf00, v0
	v_add_nc_u32_e32 v1, s23, v17
	v_cmpx_lt_i32_e64 v24, v1
	s_cbranch_execz .LBB29_252
; %bb.251:
	v_subrev_nc_u32_e32 v25, s23, v24
	v_mov_b32_e32 v26, 0
	v_add_co_u32 v2, vcc_lo, 0x3c00, v3
	v_add_co_ci_u32_e64 v3, null, 0, v4, vcc_lo
	v_lshlrev_b64 v[25:26], 2, v[25:26]
	v_add_co_u32 v4, vcc_lo, v18, v25
	v_add_co_ci_u32_e64 v18, null, v19, v26, vcc_lo
	v_cmp_gt_i32_e32 vcc_lo, s23, v24
	v_cndmask_b32_e32 v3, v18, v3, vcc_lo
	v_cndmask_b32_e32 v2, v4, v2, vcc_lo
	global_load_dword v2, v[2:3], off
.LBB29_252:
	s_or_b32 exec_lo, exec_lo, s0
	v_lshlrev_b32_e32 v3, 4, v0
	s_lshl_b32 s1, s23, 2
	s_mov_b32 s2, 0
	s_mov_b32 s0, exec_lo
	s_waitcnt vmcnt(13)
	ds_write2st64_b32 v22, v6, v7 offset0:4 offset1:8
	v_min_i32_e32 v3, v1, v3
	s_waitcnt vmcnt(11)
	ds_write2st64_b32 v22, v5, v8 offset0:12 offset1:16
	s_waitcnt vmcnt(9)
	ds_write2st64_b32 v22, v9, v10 offset0:20 offset1:24
	;; [unrolled: 2-line block ×7, first 2 shown]
	s_waitcnt lgkmcnt(0)
	s_waitcnt_vscnt null, 0x0
	s_barrier
	v_sub_nc_u32_e32 v1, v3, v17
	v_min_i32_e32 v4, s23, v3
	buffer_gl0_inv
	v_max_i32_e32 v1, 0, v1
	v_cmpx_lt_i32_e64 v1, v4
	s_cbranch_execz .LBB29_256
; %bb.253:
	v_lshlrev_b32_e32 v2, 2, v3
	v_add3_u32 v2, s1, v2, 0x400
	.p2align	6
.LBB29_254:                             ; =>This Inner Loop Header: Depth=1
	v_add_nc_u32_e32 v5, v4, v1
	v_lshrrev_b32_e32 v5, 1, v5
	v_not_b32_e32 v6, v5
	v_lshlrev_b32_e32 v7, 2, v5
	v_add_nc_u32_e32 v8, 1, v5
	v_lshl_add_u32 v6, v6, 2, v2
	ds_read_b32 v7, v7 offset:1024
	ds_read_b32 v6, v6
	s_waitcnt lgkmcnt(0)
	v_cmp_lt_i32_e32 vcc_lo, v6, v7
	v_cndmask_b32_e32 v4, v4, v5, vcc_lo
	v_cndmask_b32_e32 v1, v8, v1, vcc_lo
	v_cmp_ge_i32_e32 vcc_lo, v1, v4
	s_or_b32 s2, vcc_lo, s2
	s_andn2_b32 exec_lo, exec_lo, s2
	s_cbranch_execnz .LBB29_254
; %bb.255:
	s_or_b32 exec_lo, exec_lo, s2
.LBB29_256:
	s_or_b32 exec_lo, exec_lo, s0
	v_sub_nc_u32_e32 v6, v3, v1
	v_mov_b32_e32 v4, 0
	s_mov_b32 s2, exec_lo
	v_cmpx_lt_i32_e64 v6, v17
	s_cbranch_execz .LBB29_291
; %bb.257:
	v_lshl_add_u32 v4, v6, 2, s1
	v_mov_b32_e32 v2, 0
	v_mov_b32_e32 v7, 0
	s_mov_b32 s0, exec_lo
	ds_read_b32 v5, v4 offset:1024
	v_cmpx_lt_i32_e32 0, v1
	s_cbranch_execnz .LBB29_267
; %bb.258:
	s_or_b32 exec_lo, exec_lo, s0
	s_mov_b32 s0, exec_lo
	v_cmpx_lt_i32_e64 v2, v7
	s_cbranch_execnz .LBB29_268
.LBB29_259:
	s_or_b32 exec_lo, exec_lo, s0
	s_mov_b32 s0, exec_lo
	v_cmpx_lt_i32_e64 v2, v7
	s_cbranch_execnz .LBB29_269
.LBB29_260:
	s_or_b32 exec_lo, exec_lo, s0
	s_mov_b32 s0, exec_lo
	v_cmpx_lt_i32_e64 v2, v7
	s_cbranch_execnz .LBB29_270
.LBB29_261:
	s_or_b32 exec_lo, exec_lo, s0
	s_mov_b32 s0, exec_lo
	v_cmpx_lt_i32_e64 v2, v7
	s_cbranch_execnz .LBB29_271
	s_branch .LBB29_274
.LBB29_262:
	v_add_nc_u32_e32 v6, 1, v5
	v_lshlrev_b32_e32 v7, 2, v5
	v_mov_b32_e32 v5, v6
	ds_write_b32 v7, v25 offset:19456
	s_or_b32 exec_lo, exec_lo, s6
	s_and_saveexec_b32 s6, s5
	s_cbranch_execz .LBB29_222
.LBB29_263:
	v_lshlrev_b32_e32 v6, 2, v5
	v_add_nc_u32_e32 v5, 1, v5
	ds_write_b32 v6, v24 offset:19456
	s_or_b32 exec_lo, exec_lo, s6
	s_and_saveexec_b32 s5, s4
	s_cbranch_execz .LBB29_223
.LBB29_264:
	v_lshlrev_b32_e32 v6, 2, v5
	v_add_nc_u32_e32 v5, 1, v5
	ds_write_b32 v6, v26 offset:19456
	s_or_b32 exec_lo, exec_lo, s5
	s_and_saveexec_b32 s4, s3
	s_cbranch_execz .LBB29_224
.LBB29_265:
	v_lshlrev_b32_e32 v6, 2, v5
	v_add_nc_u32_e32 v5, 1, v5
	ds_write_b32 v6, v27 offset:19456
	s_or_b32 exec_lo, exec_lo, s4
	s_and_saveexec_b32 s3, s2
	s_cbranch_execz .LBB29_225
.LBB29_266:
	v_lshlrev_b32_e32 v6, 2, v5
	v_add_nc_u32_e32 v5, 1, v5
	ds_write_b32 v6, v28 offset:19456
	s_or_b32 exec_lo, exec_lo, s3
	s_and_saveexec_b32 s2, s1
	s_cbranch_execnz .LBB29_226
	s_branch .LBB29_227
.LBB29_267:
	v_mul_lo_u32 v2, 0x1ff, v1
	v_ashrrev_i32_e32 v7, 9, v2
	v_lshlrev_b32_e32 v2, 2, v7
	v_add_nc_u32_e32 v8, 1, v7
	ds_read_b32 v2, v2 offset:1024
	s_waitcnt lgkmcnt(0)
	v_cmp_lt_i32_e32 vcc_lo, v2, v5
	v_cndmask_b32_e32 v2, 0, v8, vcc_lo
	v_cndmask_b32_e32 v7, v7, v1, vcc_lo
	s_or_b32 exec_lo, exec_lo, s0
	s_mov_b32 s0, exec_lo
	v_cmpx_lt_i32_e64 v2, v7
	s_cbranch_execz .LBB29_259
.LBB29_268:
	v_sub_nc_u32_e32 v8, v2, v7
	v_lshl_add_u32 v8, v7, 7, v8
	v_ashrrev_i32_e32 v8, 7, v8
	v_lshlrev_b32_e32 v9, 2, v8
	v_add_nc_u32_e32 v10, 1, v8
	ds_read_b32 v9, v9 offset:1024
	s_waitcnt lgkmcnt(0)
	v_cmp_lt_i32_e32 vcc_lo, v9, v5
	v_cndmask_b32_e32 v2, v2, v10, vcc_lo
	v_cndmask_b32_e32 v7, v8, v7, vcc_lo
	s_or_b32 exec_lo, exec_lo, s0
	s_mov_b32 s0, exec_lo
	v_cmpx_lt_i32_e64 v2, v7
	s_cbranch_execz .LBB29_260
.LBB29_269:
	v_sub_nc_u32_e32 v8, v2, v7
	v_lshl_add_u32 v8, v7, 5, v8
	v_ashrrev_i32_e32 v8, 5, v8
	v_lshlrev_b32_e32 v9, 2, v8
	v_add_nc_u32_e32 v10, 1, v8
	ds_read_b32 v9, v9 offset:1024
	s_waitcnt lgkmcnt(0)
	v_cmp_lt_i32_e32 vcc_lo, v9, v5
	v_cndmask_b32_e32 v2, v2, v10, vcc_lo
	v_cndmask_b32_e32 v7, v8, v7, vcc_lo
	s_or_b32 exec_lo, exec_lo, s0
	s_mov_b32 s0, exec_lo
	v_cmpx_lt_i32_e64 v2, v7
	s_cbranch_execz .LBB29_261
.LBB29_270:
	v_sub_nc_u32_e32 v8, v2, v7
	v_lshl_add_u32 v8, v7, 4, v8
	v_ashrrev_i32_e32 v8, 4, v8
	v_lshlrev_b32_e32 v9, 2, v8
	v_add_nc_u32_e32 v10, 1, v8
	ds_read_b32 v9, v9 offset:1024
	s_waitcnt lgkmcnt(0)
	v_cmp_lt_i32_e32 vcc_lo, v9, v5
	v_cndmask_b32_e32 v2, v2, v10, vcc_lo
	v_cndmask_b32_e32 v7, v8, v7, vcc_lo
	s_or_b32 exec_lo, exec_lo, s0
	s_mov_b32 s0, exec_lo
	v_cmpx_lt_i32_e64 v2, v7
	s_cbranch_execz .LBB29_274
.LBB29_271:
	s_mov_b32 s3, 0
.LBB29_272:                             ; =>This Inner Loop Header: Depth=1
	v_sub_nc_u32_e32 v8, v2, v7
	v_lshl_add_u32 v8, v7, 1, v8
	v_ashrrev_i32_e32 v8, 1, v8
	v_lshlrev_b32_e32 v9, 2, v8
	v_add_nc_u32_e32 v10, 1, v8
	ds_read_b32 v9, v9 offset:1024
	s_waitcnt lgkmcnt(0)
	v_cmp_lt_i32_e32 vcc_lo, v9, v5
	v_cndmask_b32_e32 v2, v2, v10, vcc_lo
	v_cndmask_b32_e32 v7, v8, v7, vcc_lo
	v_cmp_ge_i32_e32 vcc_lo, v2, v7
	s_or_b32 s3, vcc_lo, s3
	s_andn2_b32 exec_lo, exec_lo, s3
	s_cbranch_execnz .LBB29_272
; %bb.273:
	s_or_b32 exec_lo, exec_lo, s3
.LBB29_274:
	s_or_b32 exec_lo, exec_lo, s0
	v_mov_b32_e32 v7, 0
	v_mov_b32_e32 v8, v6
	s_mov_b32 s0, exec_lo
	v_cmpx_lt_i32_e32 0, v6
	s_cbranch_execnz .LBB29_279
; %bb.275:
	s_or_b32 exec_lo, exec_lo, s0
	s_mov_b32 s0, exec_lo
	v_cmpx_lt_i32_e64 v7, v8
	s_cbranch_execnz .LBB29_280
.LBB29_276:
	s_or_b32 exec_lo, exec_lo, s0
	s_mov_b32 s0, exec_lo
	v_cmpx_lt_i32_e64 v7, v8
	s_cbranch_execnz .LBB29_281
.LBB29_277:
	s_or_b32 exec_lo, exec_lo, s0
	s_mov_b32 s0, exec_lo
	v_cmpx_lt_i32_e64 v7, v8
	s_cbranch_execnz .LBB29_282
.LBB29_278:
	s_or_b32 exec_lo, exec_lo, s0
	s_mov_b32 s0, exec_lo
	v_cmpx_lt_i32_e64 v7, v8
	s_cbranch_execnz .LBB29_283
	s_branch .LBB29_286
.LBB29_279:
	v_mul_lo_u32 v7, 0x1ff, v6
	v_lshrrev_b32_e32 v8, 9, v7
	v_lshl_add_u32 v7, v8, 2, s1
	v_add_nc_u32_e32 v9, 1, v8
	ds_read_b32 v7, v7 offset:1024
	s_waitcnt lgkmcnt(0)
	v_cmp_lt_i32_e32 vcc_lo, v7, v5
	v_cndmask_b32_e32 v7, 0, v9, vcc_lo
	v_cndmask_b32_e32 v8, v8, v6, vcc_lo
	s_or_b32 exec_lo, exec_lo, s0
	s_mov_b32 s0, exec_lo
	v_cmpx_lt_i32_e64 v7, v8
	s_cbranch_execz .LBB29_276
.LBB29_280:
	v_sub_nc_u32_e32 v9, v7, v8
	v_lshl_add_u32 v9, v8, 7, v9
	v_ashrrev_i32_e32 v9, 7, v9
	v_lshl_add_u32 v10, v9, 2, s1
	v_add_nc_u32_e32 v11, 1, v9
	ds_read_b32 v10, v10 offset:1024
	s_waitcnt lgkmcnt(0)
	v_cmp_lt_i32_e32 vcc_lo, v10, v5
	v_cndmask_b32_e32 v7, v7, v11, vcc_lo
	v_cndmask_b32_e32 v8, v9, v8, vcc_lo
	s_or_b32 exec_lo, exec_lo, s0
	s_mov_b32 s0, exec_lo
	v_cmpx_lt_i32_e64 v7, v8
	s_cbranch_execz .LBB29_277
.LBB29_281:
	v_sub_nc_u32_e32 v9, v7, v8
	v_lshl_add_u32 v9, v8, 5, v9
	v_ashrrev_i32_e32 v9, 5, v9
	v_lshl_add_u32 v10, v9, 2, s1
	v_add_nc_u32_e32 v11, 1, v9
	ds_read_b32 v10, v10 offset:1024
	s_waitcnt lgkmcnt(0)
	v_cmp_lt_i32_e32 vcc_lo, v10, v5
	v_cndmask_b32_e32 v7, v7, v11, vcc_lo
	v_cndmask_b32_e32 v8, v9, v8, vcc_lo
	s_or_b32 exec_lo, exec_lo, s0
	s_mov_b32 s0, exec_lo
	v_cmpx_lt_i32_e64 v7, v8
	s_cbranch_execz .LBB29_278
.LBB29_282:
	v_sub_nc_u32_e32 v9, v7, v8
	v_lshl_add_u32 v9, v8, 4, v9
	v_ashrrev_i32_e32 v9, 4, v9
	v_lshl_add_u32 v10, v9, 2, s1
	v_add_nc_u32_e32 v11, 1, v9
	ds_read_b32 v10, v10 offset:1024
	s_waitcnt lgkmcnt(0)
	v_cmp_lt_i32_e32 vcc_lo, v10, v5
	v_cndmask_b32_e32 v7, v7, v11, vcc_lo
	v_cndmask_b32_e32 v8, v9, v8, vcc_lo
	s_or_b32 exec_lo, exec_lo, s0
	s_mov_b32 s0, exec_lo
	v_cmpx_lt_i32_e64 v7, v8
	s_cbranch_execz .LBB29_286
.LBB29_283:
	s_mov_b32 s3, 0
.LBB29_284:                             ; =>This Inner Loop Header: Depth=1
	v_sub_nc_u32_e32 v9, v7, v8
	v_lshl_add_u32 v9, v8, 1, v9
	v_ashrrev_i32_e32 v9, 1, v9
	v_lshl_add_u32 v10, v9, 2, s1
	v_add_nc_u32_e32 v11, 1, v9
	ds_read_b32 v10, v10 offset:1024
	s_waitcnt lgkmcnt(0)
	v_cmp_lt_i32_e32 vcc_lo, v10, v5
	v_cndmask_b32_e32 v7, v7, v11, vcc_lo
	v_cndmask_b32_e32 v8, v9, v8, vcc_lo
	v_cmp_ge_i32_e32 vcc_lo, v7, v8
	s_or_b32 s3, vcc_lo, s3
	s_andn2_b32 exec_lo, exec_lo, s3
	s_cbranch_execnz .LBB29_284
; %bb.285:
	s_or_b32 exec_lo, exec_lo, s3
.LBB29_286:
	s_or_b32 exec_lo, exec_lo, s0
	v_sub_nc_u32_e32 v1, v1, v2
	v_sub_nc_u32_e32 v9, v6, v7
	s_mov_b32 s0, exec_lo
	v_add_nc_u32_e32 v8, v9, v1
	v_ashrrev_i32_e32 v1, 1, v8
	v_max_i32_e32 v1, v1, v9
	v_add3_u32 v7, v7, v1, 1
	v_min_i32_e32 v7, v7, v17
	v_sub_nc_u32_e32 v7, v7, v6
	v_mov_b32_e32 v6, 0
	v_cmpx_lt_i32_e32 0, v7
	s_cbranch_execz .LBB29_290
; %bb.287:
	v_mov_b32_e32 v6, 0
	s_mov_b32 s3, 0
.LBB29_288:                             ; =>This Inner Loop Header: Depth=1
	v_add_nc_u32_e32 v10, v6, v7
	v_lshrrev_b32_e32 v10, 1, v10
	v_lshl_add_u32 v11, v10, 2, v4
	v_add_nc_u32_e32 v12, 1, v10
	ds_read_b32 v11, v11 offset:1024
	s_waitcnt lgkmcnt(0)
	v_cmp_lt_i32_e32 vcc_lo, v5, v11
	v_cndmask_b32_e32 v6, v12, v6, vcc_lo
	v_cndmask_b32_e32 v7, v7, v10, vcc_lo
	v_cmp_ge_i32_e32 vcc_lo, v6, v7
	s_or_b32 s3, vcc_lo, s3
	s_andn2_b32 exec_lo, exec_lo, s3
	s_cbranch_execnz .LBB29_288
; %bb.289:
	s_or_b32 exec_lo, exec_lo, s3
.LBB29_290:
	s_or_b32 exec_lo, exec_lo, s0
	v_add_nc_u32_e32 v4, v6, v9
	s_waitcnt lgkmcnt(0)
	v_min_i32_e32 v5, v4, v1
	v_cmp_lt_i32_e32 vcc_lo, v1, v4
	v_sub_nc_u32_e32 v6, v8, v5
	v_add_nc_u32_e32 v5, 1, v5
	v_add_nc_u32_e32 v1, v6, v2
	v_cmp_eq_u32_e64 s0, v6, v5
	s_and_b32 s0, vcc_lo, s0
	v_cndmask_b32_e64 v4, 0, 1, s0
.LBB29_291:
	s_or_b32 exec_lo, exec_lo, s2
	v_add_nc_u32_e32 v2, v4, v3
	s_lshl_b32 s0, s23, 16
	v_lshlrev_b32_e32 v6, 2, v1
	v_or_b32_e32 v3, s0, v17
	v_sub_co_u32 v5, s0, v0, 1
	v_sub_nc_u32_e32 v2, v2, v1
	v_lshl_or_b32 v4, v1, 16, v2
	v_lshl_add_u32 v8, v2, 2, s1
	s_mov_b32 s1, exec_lo
	v_cndmask_b32_e64 v3, v4, v3, s0
	v_cndmask_b32_e64 v4, v5, 0xff, s0
	v_mov_b32_e32 v5, v1
	v_lshlrev_b32_e32 v4, 2, v4
	ds_write_b32 v4, v3
	s_waitcnt lgkmcnt(0)
	s_barrier
	buffer_gl0_inv
	ds_read_b32 v18, v6 offset:1024
	ds_read_b32 v3, v8 offset:1024
	ds_read_b32 v4, v22
	s_waitcnt lgkmcnt(2)
	v_mov_b32_e32 v17, v18
	s_waitcnt lgkmcnt(1)
	v_cmpx_ge_i32_e64 v3, v18
; %bb.292:
	ds_read_b32 v17, v6 offset:1028
	v_add_nc_u32_e32 v5, 1, v1
; %bb.293:
	s_or_b32 exec_lo, exec_lo, s1
	v_add_nc_u32_e32 v6, s23, v2
	v_mov_b32_e32 v7, v3
	s_mov_b32 s1, exec_lo
	v_cmpx_ge_i32_e64 v18, v3
; %bb.294:
	ds_read_b32 v7, v8 offset:1028
	v_add_nc_u32_e32 v6, 1, v6
; %bb.295:
	s_or_b32 exec_lo, exec_lo, s1
	s_waitcnt lgkmcnt(0)
	v_mov_b32_e32 v19, v17
	v_mov_b32_e32 v8, v5
	s_mov_b32 s1, exec_lo
	v_cmpx_ge_i32_e64 v7, v17
; %bb.296:
	v_lshlrev_b32_e32 v8, 2, v5
	ds_read_b32 v19, v8 offset:1028
	v_add_nc_u32_e32 v8, 1, v5
; %bb.297:
	s_or_b32 exec_lo, exec_lo, s1
	v_mov_b32_e32 v9, v7
	v_mov_b32_e32 v10, v6
	s_mov_b32 s1, exec_lo
	v_cmpx_ge_i32_e64 v17, v7
; %bb.298:
	v_lshlrev_b32_e32 v9, 2, v6
	v_add_nc_u32_e32 v10, 1, v6
	ds_read_b32 v9, v9 offset:1028
; %bb.299:
	s_or_b32 exec_lo, exec_lo, s1
	s_waitcnt lgkmcnt(0)
	v_mov_b32_e32 v20, v19
	v_mov_b32_e32 v11, v8
	s_mov_b32 s1, exec_lo
	v_cmpx_ge_i32_e64 v9, v19
; %bb.300:
	v_lshlrev_b32_e32 v11, 2, v8
	ds_read_b32 v20, v11 offset:1028
	v_add_nc_u32_e32 v11, 1, v8
; %bb.301:
	s_or_b32 exec_lo, exec_lo, s1
	v_mov_b32_e32 v12, v9
	v_mov_b32_e32 v13, v10
	s_mov_b32 s1, exec_lo
	v_cmpx_ge_i32_e64 v19, v9
; %bb.302:
	v_lshlrev_b32_e32 v12, 2, v10
	v_add_nc_u32_e32 v13, 1, v10
	ds_read_b32 v12, v12 offset:1028
; %bb.303:
	s_or_b32 exec_lo, exec_lo, s1
	s_waitcnt lgkmcnt(0)
	v_mov_b32_e32 v21, v20
	v_mov_b32_e32 v14, v11
	s_mov_b32 s1, exec_lo
	v_cmpx_ge_i32_e64 v12, v20
; %bb.304:
	v_lshlrev_b32_e32 v14, 2, v11
	ds_read_b32 v21, v14 offset:1028
	v_add_nc_u32_e32 v14, 1, v11
; %bb.305:
	s_or_b32 exec_lo, exec_lo, s1
	v_mov_b32_e32 v15, v12
	v_mov_b32_e32 v16, v13
	s_mov_b32 s1, exec_lo
	v_cmpx_ge_i32_e64 v20, v12
; %bb.306:
	v_lshlrev_b32_e32 v15, 2, v13
	v_add_nc_u32_e32 v16, 1, v13
	ds_read_b32 v15, v15 offset:1028
; %bb.307:
	s_or_b32 exec_lo, exec_lo, s1
	s_waitcnt lgkmcnt(0)
	v_mov_b32_e32 v23, v21
	v_mov_b32_e32 v34, v14
	s_mov_b32 s1, exec_lo
	v_cmpx_ge_i32_e64 v15, v21
; %bb.308:
	v_lshlrev_b32_e32 v23, 2, v14
	v_add_nc_u32_e32 v34, 1, v14
	ds_read_b32 v23, v23 offset:1028
; %bb.309:
	s_or_b32 exec_lo, exec_lo, s1
	v_mov_b32_e32 v35, v15
	v_mov_b32_e32 v36, v16
	s_mov_b32 s1, exec_lo
	v_cmpx_ge_i32_e64 v21, v15
; %bb.310:
	v_lshlrev_b32_e32 v24, 2, v16
	v_add_nc_u32_e32 v36, 1, v16
	ds_read_b32 v35, v24 offset:1028
; %bb.311:
	s_or_b32 exec_lo, exec_lo, s1
	s_waitcnt lgkmcnt(0)
	v_mov_b32_e32 v24, v23
	v_mov_b32_e32 v37, v34
	s_mov_b32 s1, exec_lo
	v_cmpx_ge_i32_e64 v35, v23
; %bb.312:
	v_lshlrev_b32_e32 v24, 2, v34
	v_add_nc_u32_e32 v37, 1, v34
	ds_read_b32 v24, v24 offset:1028
; %bb.313:
	s_or_b32 exec_lo, exec_lo, s1
	v_mov_b32_e32 v38, v35
	v_mov_b32_e32 v39, v36
	s_mov_b32 s1, exec_lo
	v_cmpx_ge_i32_e64 v23, v35
; %bb.314:
	v_lshlrev_b32_e32 v25, 2, v36
	v_add_nc_u32_e32 v39, 1, v36
	ds_read_b32 v38, v25 offset:1028
	;; [unrolled: 21-line block ×10, first 2 shown]
; %bb.347:
	s_or_b32 exec_lo, exec_lo, s1
	s_waitcnt lgkmcnt(0)
	v_mov_b32_e32 v33, v32
	v_mov_b32_e32 v64, v61
	s_mov_b32 s1, exec_lo
	v_cmpx_ge_i32_e64 v63, v32
; %bb.348:
	v_lshlrev_b32_e32 v33, 2, v61
	v_add_nc_u32_e32 v64, 1, v61
	ds_read_b32 v33, v33 offset:1028
; %bb.349:
	s_or_b32 exec_lo, exec_lo, s1
	v_mov_b32_e32 v66, v63
	v_mov_b32_e32 v65, v62
	s_mov_b32 s1, exec_lo
	v_cmpx_ge_i32_e64 v32, v63
; %bb.350:
	v_lshlrev_b32_e32 v65, 2, v62
	ds_read_b32 v66, v65 offset:1028
	v_add_nc_u32_e32 v65, 1, v62
; %bb.351:
	s_or_b32 exec_lo, exec_lo, s1
	v_add_nc_u32_sdwa v67, v4, s23 dst_sel:DWORD dst_unused:UNUSED_PAD src0_sel:WORD_0 src1_sel:DWORD
	v_cmp_ge_i32_sdwa s7, v58, sext(v4) src0_sel:DWORD src1_sel:WORD_1
	v_cmp_ge_i32_sdwa s10, v46, sext(v4) src0_sel:DWORD src1_sel:WORD_1
	;; [unrolled: 1-line block ×4, first 2 shown]
	v_cmp_ge_i32_e64 s4, v60, v67
	v_cmp_ge_i32_e64 s11, v36, v67
	v_cmp_ge_i32_sdwa s18, v11, sext(v4) src0_sel:DWORD src1_sel:WORD_1
	v_cmp_ge_i32_sdwa s17, v14, sext(v4) src0_sel:DWORD src1_sel:WORD_1
	v_cmp_ge_i32_sdwa s34, v8, sext(v4) src0_sel:DWORD src1_sel:WORD_1
	s_or_b32 s24, s7, s4
	v_cmp_ge_i32_e64 s7, v48, v67
	s_or_b32 s33, s15, s11
	v_cmp_ge_i32_e64 s15, v13, v67
	v_cmp_ge_i32_e64 s16, v10, v67
	v_cmp_gt_i32_sdwa s37, sext(v4), v1 src0_sel:WORD_1 src1_sel:DWORD
	s_or_b32 s28, s10, s7
	v_cmp_ge_i32_e64 s10, v39, v67
	s_or_b32 s36, s18, s15
	v_cmp_ne_u32_e64 s15, v9, v19
	s_or_b32 s18, s34, s16
	v_cmp_ge_i32_sdwa s34, v5, sext(v4) src0_sel:DWORD src1_sel:WORD_1
	s_or_b32 s31, s14, s10
	v_cmp_ge_i32_e64 s14, v16, v67
	v_cmp_gt_i32_sdwa s38, v4, v2 src0_sel:WORD_0 src1_sel:DWORD
	v_cmp_ne_u32_e64 s16, v7, v17
	s_or_b32 s18, s15, s18
	v_cmp_eq_u32_e64 s15, v3, v18
	s_or_b32 s35, s17, s14
	v_cmp_ge_i32_e64 s17, v6, v67
	v_cmp_ge_i32_sdwa s5, v64, sext(v4) src0_sel:DWORD src1_sel:WORD_1
	v_cmp_ge_i32_e64 s2, v65, v67
	v_cmp_ge_i32_sdwa s6, v61, sext(v4) src0_sel:DWORD src1_sel:WORD_1
	v_cmp_ge_i32_e64 s3, v62, v67
	s_or_b32 s17, s34, s17
	s_and_b32 s34, s37, s38
	v_cmp_ne_u32_e64 s11, v15, v21
	v_cmp_ne_u32_e64 s14, v12, v20
	s_or_b32 s16, s16, s17
	s_and_b32 s15, s34, s15
	v_cmp_ge_i32_sdwa s8, v55, sext(v4) src0_sel:DWORD src1_sel:WORD_1
	s_or_b32 s19, s5, s2
	v_cmp_ge_i32_e64 s2, v57, v67
	v_cndmask_b32_e64 v1, 4, 0, s18
	v_cndmask_b32_e64 v2, 2, 0, s16
	;; [unrolled: 1-line block ×3, first 2 shown]
	s_or_b32 s23, s6, s3
	v_cmp_ge_i32_sdwa s9, v49, sext(v4) src0_sel:DWORD src1_sel:WORD_1
	v_cmp_ge_i32_e64 s6, v51, v67
	v_cmp_ne_u32_e64 s13, v38, v24
	v_cmp_ne_u32_e64 s10, v35, v23
	s_or_b32 s11, s11, s35
	s_or_b32 s14, s14, s36
	;; [unrolled: 1-line block ×3, first 2 shown]
	v_cmp_ge_i32_sdwa s8, v52, sext(v4) src0_sel:DWORD src1_sel:WORD_1
	v_cmp_ge_i32_sdwa s29, v43, sext(v4) src0_sel:DWORD src1_sel:WORD_1
	;; [unrolled: 1-line block ×3, first 2 shown]
	v_cndmask_b32_e64 v4, 16, 0, s11
	v_cndmask_b32_e64 v5, 8, 0, s14
	v_or3_b32 v1, v2, v3, v1
	v_cmp_ge_i32_e64 s5, v54, v67
	v_cmp_ge_i32_e64 s12, v41, v67
	s_or_b32 s27, s9, s6
	v_cmp_ne_u32_e64 s9, v42, v25
	s_or_b32 s13, s13, s31
	s_or_b32 s10, s10, s33
	v_cndmask_b32_e64 v2, 64, 0, s13
	v_cndmask_b32_e64 v3, 32, 0, s10
	v_or3_b32 v1, v1, v5, v4
	s_or_b32 s26, s8, s5
	v_cmp_ne_u32_e64 s6, v47, v27
	v_cmp_ge_i32_e64 s8, v45, v67
	s_or_b32 s12, s30, s12
	v_cmp_ne_u32_e64 s7, v44, v26
	s_or_b32 s9, s9, s12
	v_or3_b32 v39, v1, v3, v2
	v_cndmask_b32_e64 v4, 0x80, 0, s9
	v_cmp_ne_u32_e64 s2, v53, v29
	s_or_b32 s8, s29, s8
	s_or_b32 s6, s6, s28
	v_cmp_ne_u32_e64 s5, v50, v28
	v_cndmask_b32_e64 v1, 0x200, 0, s6
	s_or_b32 s6, s7, s8
	v_or_b32_e32 v38, v4, v39
	v_cndmask_b32_e64 v2, 0x100, 0, s6
	v_cmp_ne_u32_e64 s3, v59, v31
	s_or_b32 s2, s2, s26
	v_cmp_ne_u32_e64 s4, v56, v30
	v_cndmask_b32_e64 v3, 0x800, 0, s2
	s_or_b32 s2, s5, s27
	v_or3_b32 v37, v2, v1, v38
	v_cndmask_b32_e64 v4, 0x400, 0, s2
	s_or_b32 s2, s3, s24
	s_waitcnt lgkmcnt(0)
	v_cmp_ne_u32_e32 vcc_lo, v66, v33
	v_cmp_ne_u32_e64 s1, v63, v32
	v_cndmask_b32_e64 v1, 0x2000, 0, s2
	s_or_b32 s2, s4, s25
	v_or3_b32 v36, v4, v3, v37
	v_cndmask_b32_e64 v2, 0x1000, 0, s2
	s_or_b32 s2, vcc_lo, s19
	s_or_b32 s1, s1, s23
	v_cndmask_b32_e64 v3, 0x8000, 0, s2
	v_cndmask_b32_e64 v4, 0x4000, 0, s1
	v_or3_b32 v35, v2, v1, v36
	v_mov_b32_e32 v10, 0
	v_mbcnt_lo_u32_b32 v40, -1, 0
	s_mov_b32 s1, -1
	s_cmp_lg_u32 s22, 0
	v_or3_b32 v34, v4, v3, v35
	s_barrier
	buffer_gl0_inv
	v_bcnt_u32_b32 v9, v34, 0
	s_cbranch_scc0 .LBB29_409
; %bb.352:
	v_mov_b32_e32 v1, v9
	v_and_b32_e32 v5, 15, v40
	v_mov_b32_dpp v7, v9 row_shr:1 row_mask:0xf bank_mask:0xf
	v_mov_b32_dpp v6, v10 row_shr:1 row_mask:0xf bank_mask:0xf
	v_mov_b32_e32 v4, v9
	v_mov_b32_e32 v3, v10
	;; [unrolled: 1-line block ×3, first 2 shown]
	s_mov_b32 s1, exec_lo
	v_cmpx_ne_u32_e32 0, v5
; %bb.353:
	v_add_co_u32 v4, s2, v7, v9
	v_add_co_ci_u32_e64 v1, null, 0, 0, s2
	v_add_co_u32 v2, vcc_lo, 0, v4
	v_add_co_ci_u32_e64 v3, null, v6, v1, vcc_lo
	v_mov_b32_e32 v1, v2
	v_mov_b32_e32 v2, v3
; %bb.354:
	s_or_b32 exec_lo, exec_lo, s1
	v_mov_b32_dpp v7, v4 row_shr:2 row_mask:0xf bank_mask:0xf
	v_mov_b32_dpp v6, v3 row_shr:2 row_mask:0xf bank_mask:0xf
	s_mov_b32 s1, exec_lo
	v_cmpx_lt_u32_e32 1, v5
; %bb.355:
	v_add_co_u32 v4, vcc_lo, v1, v7
	v_add_co_ci_u32_e64 v1, null, 0, v2, vcc_lo
	v_add_co_u32 v2, vcc_lo, 0, v4
	v_add_co_ci_u32_e64 v3, null, v6, v1, vcc_lo
	v_mov_b32_e32 v1, v2
	v_mov_b32_e32 v2, v3
; %bb.356:
	s_or_b32 exec_lo, exec_lo, s1
	v_mov_b32_dpp v7, v4 row_shr:4 row_mask:0xf bank_mask:0xf
	v_mov_b32_dpp v6, v3 row_shr:4 row_mask:0xf bank_mask:0xf
	s_mov_b32 s1, exec_lo
	v_cmpx_lt_u32_e32 3, v5
; %bb.357:
	v_add_co_u32 v4, vcc_lo, v1, v7
	v_add_co_ci_u32_e64 v1, null, 0, v2, vcc_lo
	;; [unrolled: 13-line block ×3, first 2 shown]
	v_add_co_u32 v1, vcc_lo, 0, v4
	v_add_co_ci_u32_e64 v2, null, v6, v2, vcc_lo
	v_mov_b32_e32 v3, v2
; %bb.360:
	s_or_b32 exec_lo, exec_lo, s1
	ds_swizzle_b32 v5, v4 offset:swizzle(BROADCAST,32,15)
	ds_swizzle_b32 v3, v3 offset:swizzle(BROADCAST,32,15)
	v_and_b32_e32 v6, 16, v40
	s_mov_b32 s1, exec_lo
	v_cmpx_ne_u32_e32 0, v6
	s_cbranch_execz .LBB29_362
; %bb.361:
	s_waitcnt lgkmcnt(1)
	v_add_co_u32 v4, vcc_lo, v1, v5
	v_add_co_ci_u32_e64 v2, null, 0, v2, vcc_lo
	v_add_co_u32 v1, vcc_lo, 0, v4
	s_waitcnt lgkmcnt(0)
	v_add_co_ci_u32_e64 v2, null, v3, v2, vcc_lo
.LBB29_362:
	s_or_b32 exec_lo, exec_lo, s1
	s_waitcnt lgkmcnt(1)
	v_or_b32_e32 v5, 31, v0
	s_waitcnt lgkmcnt(0)
	v_lshrrev_b32_e32 v3, 5, v0
	s_mov_b32 s1, exec_lo
	v_cmpx_eq_u32_e64 v0, v5
; %bb.363:
	v_lshlrev_b32_e32 v5, 3, v3
	ds_write_b64 v5, v[1:2]
; %bb.364:
	s_or_b32 exec_lo, exec_lo, s1
	s_mov_b32 s1, exec_lo
	s_waitcnt lgkmcnt(0)
	s_barrier
	buffer_gl0_inv
	v_cmpx_gt_u32_e32 8, v0
	s_cbranch_execz .LBB29_372
; %bb.365:
	v_lshlrev_b32_e32 v5, 3, v0
	v_and_b32_e32 v6, 7, v40
	s_mov_b32 s2, exec_lo
	ds_read_b64 v[1:2], v5
	s_waitcnt lgkmcnt(0)
	v_mov_b32_dpp v11, v1 row_shr:1 row_mask:0xf bank_mask:0xf
	v_mov_b32_dpp v8, v2 row_shr:1 row_mask:0xf bank_mask:0xf
	v_mov_b32_e32 v7, v1
	v_cmpx_ne_u32_e32 0, v6
; %bb.366:
	v_add_co_u32 v7, vcc_lo, v1, v11
	v_add_co_ci_u32_e64 v2, null, 0, v2, vcc_lo
	v_add_co_u32 v1, vcc_lo, 0, v7
	v_add_co_ci_u32_e64 v2, null, v8, v2, vcc_lo
; %bb.367:
	s_or_b32 exec_lo, exec_lo, s2
	v_mov_b32_dpp v11, v7 row_shr:2 row_mask:0xf bank_mask:0xf
	v_mov_b32_dpp v8, v2 row_shr:2 row_mask:0xf bank_mask:0xf
	s_mov_b32 s2, exec_lo
	v_cmpx_lt_u32_e32 1, v6
; %bb.368:
	v_add_co_u32 v7, vcc_lo, v1, v11
	v_add_co_ci_u32_e64 v2, null, 0, v2, vcc_lo
	v_add_co_u32 v1, vcc_lo, 0, v7
	v_add_co_ci_u32_e64 v2, null, v8, v2, vcc_lo
; %bb.369:
	s_or_b32 exec_lo, exec_lo, s2
	v_mov_b32_dpp v8, v7 row_shr:4 row_mask:0xf bank_mask:0xf
	v_mov_b32_dpp v7, v2 row_shr:4 row_mask:0xf bank_mask:0xf
	s_mov_b32 s2, exec_lo
	v_cmpx_lt_u32_e32 3, v6
; %bb.370:
	v_add_co_u32 v1, vcc_lo, v1, v8
	v_add_co_ci_u32_e64 v2, null, 0, v2, vcc_lo
	v_add_co_u32 v1, vcc_lo, v1, 0
	v_add_co_ci_u32_e64 v2, null, v2, v7, vcc_lo
; %bb.371:
	s_or_b32 exec_lo, exec_lo, s2
	ds_write_b64 v5, v[1:2]
.LBB29_372:
	s_or_b32 exec_lo, exec_lo, s1
	s_mov_b32 s2, exec_lo
	v_cmp_gt_u32_e32 vcc_lo, 32, v0
	s_waitcnt lgkmcnt(0)
	s_barrier
	buffer_gl0_inv
                                        ; implicit-def: $vgpr11_vgpr12
	v_cmpx_lt_u32_e32 31, v0
	s_cbranch_execz .LBB29_374
; %bb.373:
	v_lshl_add_u32 v1, v3, 3, -8
	ds_read_b64 v[11:12], v1
	s_waitcnt lgkmcnt(0)
	v_add_nc_u32_e32 v4, v4, v11
.LBB29_374:
	s_or_b32 exec_lo, exec_lo, s2
	v_sub_co_u32 v1, s1, v40, 1
	v_cmp_gt_i32_e64 s2, 0, v1
	v_cndmask_b32_e64 v1, v1, v40, s2
	v_lshlrev_b32_e32 v1, 2, v1
	ds_bpermute_b32 v41, v1, v4
	s_and_saveexec_b32 s2, vcc_lo
	s_cbranch_execz .LBB29_414
; %bb.375:
	v_mov_b32_e32 v4, 0
	ds_read_b64 v[1:2], v4 offset:56
	s_and_saveexec_b32 s3, s1
	s_cbranch_execz .LBB29_377
; %bb.376:
	s_add_i32 s4, s22, 32
	s_mov_b32 s5, 0
	v_mov_b32_e32 v3, 1
	s_lshl_b64 s[4:5], s[4:5], 4
	s_add_u32 s4, s20, s4
	s_addc_u32 s5, s21, s5
	v_mov_b32_e32 v6, s5
	v_mov_b32_e32 v5, s4
	s_waitcnt lgkmcnt(0)
	;;#ASMSTART
	global_store_dwordx4 v[5:6], v[1:4] off	
s_waitcnt vmcnt(0)
	;;#ASMEND
.LBB29_377:
	s_or_b32 exec_lo, exec_lo, s3
	v_xad_u32 v13, v40, -1, s22
	s_mov_b32 s4, 0
	v_add_nc_u32_e32 v3, 32, v13
	v_lshlrev_b64 v[5:6], 4, v[3:4]
	v_add_co_u32 v14, vcc_lo, s20, v5
	v_add_co_ci_u32_e64 v15, null, s21, v6, vcc_lo
	;;#ASMSTART
	global_load_dwordx4 v[5:8], v[14:15] off glc dlc	
s_waitcnt vmcnt(0)
	;;#ASMEND
	v_cmp_eq_u16_sdwa s5, v7, v4 src0_sel:BYTE_0 src1_sel:DWORD
	s_and_saveexec_b32 s3, s5
	s_cbranch_execz .LBB29_381
; %bb.378:
	v_mov_b32_e32 v3, 0
.LBB29_379:                             ; =>This Inner Loop Header: Depth=1
	;;#ASMSTART
	global_load_dwordx4 v[5:8], v[14:15] off glc dlc	
s_waitcnt vmcnt(0)
	;;#ASMEND
	v_cmp_ne_u16_sdwa s5, v7, v3 src0_sel:BYTE_0 src1_sel:DWORD
	s_or_b32 s4, s5, s4
	s_andn2_b32 exec_lo, exec_lo, s4
	s_cbranch_execnz .LBB29_379
; %bb.380:
	s_or_b32 exec_lo, exec_lo, s4
.LBB29_381:
	s_or_b32 exec_lo, exec_lo, s3
	v_cmp_ne_u32_e32 vcc_lo, 31, v40
	v_mov_b32_e32 v4, 2
	v_lshlrev_b32_e64 v43, v40, -1
	v_add_co_ci_u32_e64 v3, null, 0, v40, vcc_lo
	v_cmp_eq_u16_sdwa s3, v7, v4 src0_sel:BYTE_0 src1_sel:DWORD
	v_mov_b32_e32 v4, v5
	v_lshlrev_b32_e32 v42, 2, v3
	v_and_or_b32 v3, s3, v43, 0x80000000
	s_mov_b32 s3, exec_lo
	ds_bpermute_b32 v14, v42, v5
	ds_bpermute_b32 v8, v42, v6
	v_ffbl_b32_e32 v3, v3
	v_cmpx_lt_u32_e64 v40, v3
	s_cbranch_execz .LBB29_383
; %bb.382:
	s_waitcnt lgkmcnt(1)
	v_add_co_u32 v4, vcc_lo, v5, v14
	v_add_co_ci_u32_e64 v6, null, 0, v6, vcc_lo
	v_add_co_u32 v5, vcc_lo, 0, v4
	s_waitcnt lgkmcnt(0)
	v_add_co_ci_u32_e64 v6, null, v8, v6, vcc_lo
.LBB29_383:
	s_or_b32 exec_lo, exec_lo, s3
	v_cmp_gt_u32_e32 vcc_lo, 30, v40
	v_add_nc_u32_e32 v45, 2, v40
	s_mov_b32 s3, exec_lo
	s_waitcnt lgkmcnt(0)
	v_cndmask_b32_e64 v8, 0, 2, vcc_lo
	v_add_lshl_u32 v44, v8, v40, 2
	ds_bpermute_b32 v14, v44, v4
	ds_bpermute_b32 v8, v44, v6
	v_cmpx_le_u32_e64 v45, v3
	s_cbranch_execz .LBB29_385
; %bb.384:
	s_waitcnt lgkmcnt(1)
	v_add_co_u32 v4, vcc_lo, v5, v14
	v_add_co_ci_u32_e64 v6, null, 0, v6, vcc_lo
	v_add_co_u32 v5, vcc_lo, 0, v4
	s_waitcnt lgkmcnt(0)
	v_add_co_ci_u32_e64 v6, null, v8, v6, vcc_lo
.LBB29_385:
	s_or_b32 exec_lo, exec_lo, s3
	v_cmp_gt_u32_e32 vcc_lo, 28, v40
	v_add_nc_u32_e32 v47, 4, v40
	s_mov_b32 s3, exec_lo
	s_waitcnt lgkmcnt(0)
	v_cndmask_b32_e64 v8, 0, 4, vcc_lo
	v_add_lshl_u32 v46, v8, v40, 2
	ds_bpermute_b32 v14, v46, v4
	ds_bpermute_b32 v8, v46, v6
	v_cmpx_le_u32_e64 v47, v3
	;; [unrolled: 19-line block ×3, first 2 shown]
	s_cbranch_execz .LBB29_389
; %bb.388:
	s_waitcnt lgkmcnt(1)
	v_add_co_u32 v4, vcc_lo, v5, v14
	v_add_co_ci_u32_e64 v6, null, 0, v6, vcc_lo
	v_add_co_u32 v5, vcc_lo, 0, v4
	s_waitcnt lgkmcnt(0)
	v_add_co_ci_u32_e64 v6, null, v8, v6, vcc_lo
.LBB29_389:
	s_or_b32 exec_lo, exec_lo, s3
	v_lshl_or_b32 v50, v40, 2, 64
	v_add_nc_u32_e32 v51, 16, v40
	s_mov_b32 s3, exec_lo
	s_waitcnt lgkmcnt(0)
	ds_bpermute_b32 v8, v50, v4
	ds_bpermute_b32 v4, v50, v6
	v_cmpx_le_u32_e64 v51, v3
	s_cbranch_execz .LBB29_391
; %bb.390:
	s_waitcnt lgkmcnt(1)
	v_add_co_u32 v3, vcc_lo, v5, v8
	v_add_co_ci_u32_e64 v6, null, 0, v6, vcc_lo
	v_add_co_u32 v5, vcc_lo, v3, 0
	s_waitcnt lgkmcnt(0)
	v_add_co_ci_u32_e64 v6, null, v6, v4, vcc_lo
.LBB29_391:
	s_or_b32 exec_lo, exec_lo, s3
	v_mov_b32_e32 v14, 0
	v_mov_b32_e32 v52, 2
	s_branch .LBB29_394
.LBB29_392:                             ;   in Loop: Header=BB29_394 Depth=1
	s_or_b32 exec_lo, exec_lo, s3
	v_add_co_u32 v5, vcc_lo, v5, v3
	v_subrev_nc_u32_e32 v13, 32, v13
	v_add_co_ci_u32_e64 v6, null, v6, v4, vcc_lo
	s_mov_b32 s3, 0
.LBB29_393:                             ;   in Loop: Header=BB29_394 Depth=1
	s_and_b32 vcc_lo, exec_lo, s3
	s_cbranch_vccnz .LBB29_410
.LBB29_394:                             ; =>This Loop Header: Depth=1
                                        ;     Child Loop BB29_397 Depth 2
	v_cmp_ne_u16_sdwa s3, v7, v52 src0_sel:BYTE_0 src1_sel:DWORD
	s_waitcnt lgkmcnt(0)
	v_mov_b32_e32 v3, v5
	v_mov_b32_e32 v4, v6
                                        ; implicit-def: $vgpr5_vgpr6
	s_cmp_lg_u32 s3, exec_lo
	s_mov_b32 s3, -1
	s_cbranch_scc1 .LBB29_393
; %bb.395:                              ;   in Loop: Header=BB29_394 Depth=1
	v_lshlrev_b64 v[5:6], 4, v[13:14]
	v_add_co_u32 v15, vcc_lo, s20, v5
	v_add_co_ci_u32_e64 v16, null, s21, v6, vcc_lo
	;;#ASMSTART
	global_load_dwordx4 v[5:8], v[15:16] off glc dlc	
s_waitcnt vmcnt(0)
	;;#ASMEND
	v_cmp_eq_u16_sdwa s4, v7, v14 src0_sel:BYTE_0 src1_sel:DWORD
	s_and_saveexec_b32 s3, s4
	s_cbranch_execz .LBB29_399
; %bb.396:                              ;   in Loop: Header=BB29_394 Depth=1
	s_mov_b32 s4, 0
.LBB29_397:                             ;   Parent Loop BB29_394 Depth=1
                                        ; =>  This Inner Loop Header: Depth=2
	;;#ASMSTART
	global_load_dwordx4 v[5:8], v[15:16] off glc dlc	
s_waitcnt vmcnt(0)
	;;#ASMEND
	v_cmp_ne_u16_sdwa s5, v7, v14 src0_sel:BYTE_0 src1_sel:DWORD
	s_or_b32 s4, s5, s4
	s_andn2_b32 exec_lo, exec_lo, s4
	s_cbranch_execnz .LBB29_397
; %bb.398:                              ;   in Loop: Header=BB29_394 Depth=1
	s_or_b32 exec_lo, exec_lo, s4
.LBB29_399:                             ;   in Loop: Header=BB29_394 Depth=1
	s_or_b32 exec_lo, exec_lo, s3
	ds_bpermute_b32 v53, v42, v5
	ds_bpermute_b32 v16, v42, v6
	v_cmp_eq_u16_sdwa s3, v7, v52 src0_sel:BYTE_0 src1_sel:DWORD
	v_mov_b32_e32 v15, v5
	v_and_or_b32 v8, s3, v43, 0x80000000
	s_mov_b32 s3, exec_lo
	v_ffbl_b32_e32 v8, v8
	v_cmpx_lt_u32_e64 v40, v8
	s_cbranch_execz .LBB29_401
; %bb.400:                              ;   in Loop: Header=BB29_394 Depth=1
	s_waitcnt lgkmcnt(1)
	v_add_co_u32 v15, vcc_lo, v5, v53
	v_add_co_ci_u32_e64 v6, null, 0, v6, vcc_lo
	v_add_co_u32 v5, vcc_lo, 0, v15
	s_waitcnt lgkmcnt(0)
	v_add_co_ci_u32_e64 v6, null, v16, v6, vcc_lo
.LBB29_401:                             ;   in Loop: Header=BB29_394 Depth=1
	s_or_b32 exec_lo, exec_lo, s3
	s_waitcnt lgkmcnt(1)
	ds_bpermute_b32 v53, v44, v15
	s_waitcnt lgkmcnt(1)
	ds_bpermute_b32 v16, v44, v6
	s_mov_b32 s3, exec_lo
	v_cmpx_le_u32_e64 v45, v8
	s_cbranch_execz .LBB29_403
; %bb.402:                              ;   in Loop: Header=BB29_394 Depth=1
	s_waitcnt lgkmcnt(1)
	v_add_co_u32 v15, vcc_lo, v5, v53
	v_add_co_ci_u32_e64 v6, null, 0, v6, vcc_lo
	v_add_co_u32 v5, vcc_lo, 0, v15
	s_waitcnt lgkmcnt(0)
	v_add_co_ci_u32_e64 v6, null, v16, v6, vcc_lo
.LBB29_403:                             ;   in Loop: Header=BB29_394 Depth=1
	s_or_b32 exec_lo, exec_lo, s3
	s_waitcnt lgkmcnt(1)
	ds_bpermute_b32 v53, v46, v15
	s_waitcnt lgkmcnt(1)
	ds_bpermute_b32 v16, v46, v6
	s_mov_b32 s3, exec_lo
	v_cmpx_le_u32_e64 v47, v8
	;; [unrolled: 16-line block ×3, first 2 shown]
	s_cbranch_execz .LBB29_407
; %bb.406:                              ;   in Loop: Header=BB29_394 Depth=1
	s_waitcnt lgkmcnt(1)
	v_add_co_u32 v15, vcc_lo, v5, v53
	v_add_co_ci_u32_e64 v6, null, 0, v6, vcc_lo
	v_add_co_u32 v5, vcc_lo, 0, v15
	s_waitcnt lgkmcnt(0)
	v_add_co_ci_u32_e64 v6, null, v16, v6, vcc_lo
.LBB29_407:                             ;   in Loop: Header=BB29_394 Depth=1
	s_or_b32 exec_lo, exec_lo, s3
	s_waitcnt lgkmcnt(0)
	ds_bpermute_b32 v16, v50, v15
	ds_bpermute_b32 v15, v50, v6
	s_mov_b32 s3, exec_lo
	v_cmpx_le_u32_e64 v51, v8
	s_cbranch_execz .LBB29_392
; %bb.408:                              ;   in Loop: Header=BB29_394 Depth=1
	s_waitcnt lgkmcnt(1)
	v_add_co_u32 v5, vcc_lo, v5, v16
	v_add_co_ci_u32_e64 v6, null, 0, v6, vcc_lo
	v_add_co_u32 v5, vcc_lo, v5, 0
	s_waitcnt lgkmcnt(0)
	v_add_co_ci_u32_e64 v6, null, v6, v15, vcc_lo
	s_branch .LBB29_392
.LBB29_409:
                                        ; implicit-def: $vgpr1_vgpr2
                                        ; implicit-def: $vgpr4_vgpr5
	s_and_b32 vcc_lo, exec_lo, s1
	s_cbranch_vccnz .LBB29_415
	s_branch .LBB29_440
.LBB29_410:
	s_and_saveexec_b32 s3, s1
	s_cbranch_execz .LBB29_412
; %bb.411:
	s_add_i32 s4, s22, 32
	s_mov_b32 s5, 0
	v_add_co_u32 v5, vcc_lo, v3, v1
	s_lshl_b64 s[4:5], s[4:5], 4
	v_mov_b32_e32 v8, 0
	s_add_u32 s4, s20, s4
	s_addc_u32 s5, s21, s5
	v_add_co_ci_u32_e64 v6, null, v4, v2, vcc_lo
	v_mov_b32_e32 v14, s5
	v_mov_b32_e32 v7, 2
	;; [unrolled: 1-line block ×3, first 2 shown]
	;;#ASMSTART
	global_store_dwordx4 v[13:14], v[5:8] off	
s_waitcnt vmcnt(0)
	;;#ASMEND
	ds_write_b128 v8, v[1:4] offset:64
.LBB29_412:
	s_or_b32 exec_lo, exec_lo, s3
	s_and_b32 exec_lo, exec_lo, s0
; %bb.413:
	v_mov_b32_e32 v1, 0
	ds_write_b64 v1, v[3:4] offset:56
.LBB29_414:
	s_or_b32 exec_lo, exec_lo, s2
	v_mov_b32_e32 v1, 0
	s_waitcnt lgkmcnt(0)
	s_barrier
	buffer_gl0_inv
	v_cndmask_b32_e64 v3, 0, v12, s1
	ds_read_b64 v[4:5], v1 offset:56
	s_waitcnt lgkmcnt(0)
	s_barrier
	buffer_gl0_inv
	ds_read_b64 v[1:2], v1 offset:72
	s_waitcnt lgkmcnt(0)
	v_cndmask_b32_e64 v2, v41, v11, s1
	v_cndmask_b32_e64 v3, v3, 0, s0
	;; [unrolled: 1-line block ×3, first 2 shown]
	v_add_co_u32 v4, vcc_lo, v4, v2
	v_add_co_ci_u32_e64 v2, null, v5, v3, vcc_lo
	s_branch .LBB29_440
.LBB29_415:
	v_mov_b32_e32 v3, 0
	v_mov_b32_e32 v1, v9
	v_and_b32_e32 v4, 15, v40
	v_mov_b32_dpp v6, v9 row_shr:1 row_mask:0xf bank_mask:0xf
	v_mov_b32_e32 v2, v10
	v_mov_b32_dpp v5, v3 row_shr:1 row_mask:0xf bank_mask:0xf
	s_mov_b32 s1, exec_lo
	v_cmpx_ne_u32_e32 0, v4
; %bb.416:
	v_add_co_u32 v9, s2, v6, v9
	v_add_co_ci_u32_e64 v1, null, 0, 0, s2
	v_add_co_u32 v2, vcc_lo, 0, v9
	v_add_co_ci_u32_e64 v3, null, v5, v1, vcc_lo
	v_mov_b32_e32 v1, v2
	v_mov_b32_e32 v2, v3
; %bb.417:
	s_or_b32 exec_lo, exec_lo, s1
	v_mov_b32_dpp v6, v9 row_shr:2 row_mask:0xf bank_mask:0xf
	v_mov_b32_dpp v5, v3 row_shr:2 row_mask:0xf bank_mask:0xf
	s_mov_b32 s1, exec_lo
	v_cmpx_lt_u32_e32 1, v4
; %bb.418:
	v_add_co_u32 v9, vcc_lo, v1, v6
	v_add_co_ci_u32_e64 v1, null, 0, v2, vcc_lo
	v_add_co_u32 v2, vcc_lo, 0, v9
	v_add_co_ci_u32_e64 v3, null, v5, v1, vcc_lo
	v_mov_b32_e32 v1, v2
	v_mov_b32_e32 v2, v3
; %bb.419:
	s_or_b32 exec_lo, exec_lo, s1
	v_mov_b32_dpp v6, v9 row_shr:4 row_mask:0xf bank_mask:0xf
	v_mov_b32_dpp v5, v3 row_shr:4 row_mask:0xf bank_mask:0xf
	s_mov_b32 s1, exec_lo
	v_cmpx_lt_u32_e32 3, v4
; %bb.420:
	v_add_co_u32 v9, vcc_lo, v1, v6
	v_add_co_ci_u32_e64 v1, null, 0, v2, vcc_lo
	;; [unrolled: 13-line block ×3, first 2 shown]
	v_add_co_u32 v1, vcc_lo, 0, v9
	v_add_co_ci_u32_e64 v2, null, v5, v2, vcc_lo
	v_mov_b32_e32 v3, v2
; %bb.423:
	s_or_b32 exec_lo, exec_lo, s1
	ds_swizzle_b32 v4, v9 offset:swizzle(BROADCAST,32,15)
	ds_swizzle_b32 v3, v3 offset:swizzle(BROADCAST,32,15)
	v_and_b32_e32 v5, 16, v40
	s_mov_b32 s1, exec_lo
	v_cmpx_ne_u32_e32 0, v5
	s_cbranch_execz .LBB29_425
; %bb.424:
	s_waitcnt lgkmcnt(1)
	v_add_co_u32 v9, vcc_lo, v1, v4
	v_add_co_ci_u32_e64 v2, null, 0, v2, vcc_lo
	v_add_co_u32 v1, vcc_lo, 0, v9
	s_waitcnt lgkmcnt(0)
	v_add_co_ci_u32_e64 v2, null, v3, v2, vcc_lo
.LBB29_425:
	s_or_b32 exec_lo, exec_lo, s1
	s_waitcnt lgkmcnt(1)
	v_or_b32_e32 v4, 31, v0
	s_waitcnt lgkmcnt(0)
	v_lshrrev_b32_e32 v3, 5, v0
	s_mov_b32 s1, exec_lo
	v_cmpx_eq_u32_e64 v0, v4
; %bb.426:
	v_lshlrev_b32_e32 v4, 3, v3
	ds_write_b64 v4, v[1:2]
; %bb.427:
	s_or_b32 exec_lo, exec_lo, s1
	s_mov_b32 s1, exec_lo
	s_waitcnt lgkmcnt(0)
	s_barrier
	buffer_gl0_inv
	v_cmpx_gt_u32_e32 8, v0
	s_cbranch_execz .LBB29_435
; %bb.428:
	v_add_nc_u32_e32 v4, v22, v22
	v_and_b32_e32 v5, 7, v40
	s_mov_b32 s2, exec_lo
	ds_read_b64 v[1:2], v4
	s_waitcnt lgkmcnt(0)
	v_mov_b32_dpp v8, v1 row_shr:1 row_mask:0xf bank_mask:0xf
	v_mov_b32_dpp v7, v2 row_shr:1 row_mask:0xf bank_mask:0xf
	v_mov_b32_e32 v6, v1
	v_cmpx_ne_u32_e32 0, v5
; %bb.429:
	v_add_co_u32 v6, vcc_lo, v1, v8
	v_add_co_ci_u32_e64 v2, null, 0, v2, vcc_lo
	v_add_co_u32 v1, vcc_lo, 0, v6
	v_add_co_ci_u32_e64 v2, null, v7, v2, vcc_lo
; %bb.430:
	s_or_b32 exec_lo, exec_lo, s2
	v_mov_b32_dpp v8, v6 row_shr:2 row_mask:0xf bank_mask:0xf
	v_mov_b32_dpp v7, v2 row_shr:2 row_mask:0xf bank_mask:0xf
	s_mov_b32 s2, exec_lo
	v_cmpx_lt_u32_e32 1, v5
; %bb.431:
	v_add_co_u32 v6, vcc_lo, v1, v8
	v_add_co_ci_u32_e64 v2, null, 0, v2, vcc_lo
	v_add_co_u32 v1, vcc_lo, 0, v6
	v_add_co_ci_u32_e64 v2, null, v7, v2, vcc_lo
; %bb.432:
	s_or_b32 exec_lo, exec_lo, s2
	v_mov_b32_dpp v7, v6 row_shr:4 row_mask:0xf bank_mask:0xf
	v_mov_b32_dpp v6, v2 row_shr:4 row_mask:0xf bank_mask:0xf
	s_mov_b32 s2, exec_lo
	v_cmpx_lt_u32_e32 3, v5
; %bb.433:
	v_add_co_u32 v1, vcc_lo, v1, v7
	v_add_co_ci_u32_e64 v2, null, 0, v2, vcc_lo
	v_add_co_u32 v1, vcc_lo, v1, 0
	v_add_co_ci_u32_e64 v2, null, v2, v6, vcc_lo
; %bb.434:
	s_or_b32 exec_lo, exec_lo, s2
	ds_write_b64 v4, v[1:2]
.LBB29_435:
	s_or_b32 exec_lo, exec_lo, s1
	s_mov_b32 s1, exec_lo
	v_mov_b32_e32 v1, 0
	v_mov_b32_e32 v2, 0
	s_waitcnt lgkmcnt(0)
	s_barrier
	buffer_gl0_inv
	v_cmpx_lt_u32_e32 31, v0
; %bb.436:
	v_lshl_add_u32 v0, v3, 3, -8
	ds_read_b64 v[1:2], v0
; %bb.437:
	s_or_b32 exec_lo, exec_lo, s1
	v_sub_co_u32 v0, vcc_lo, v40, 1
	s_waitcnt lgkmcnt(0)
	v_add_nc_u32_e32 v2, v9, v1
	v_mov_b32_e32 v3, 0
	v_cmp_gt_i32_e64 s1, 0, v0
	v_cndmask_b32_e64 v0, v0, v40, s1
	v_lshlrev_b32_e32 v0, 2, v0
	ds_bpermute_b32 v0, v0, v2
	s_waitcnt lgkmcnt(0)
	v_cndmask_b32_e32 v4, v0, v1, vcc_lo
	s_and_saveexec_b32 s1, s0
	s_cbranch_execz .LBB29_439
; %bb.438:
	s_add_u32 s2, s20, 0x200
	s_addc_u32 s3, s21, 0
	ds_read_b64 v[0:1], v3 offset:56
	v_mov_b32_e32 v6, s3
	v_mov_b32_e32 v2, 2
	;; [unrolled: 1-line block ×3, first 2 shown]
	s_waitcnt lgkmcnt(0)
	;;#ASMSTART
	global_store_dwordx4 v[5:6], v[0:3] off	
s_waitcnt vmcnt(0)
	;;#ASMEND
.LBB29_439:
	s_or_b32 exec_lo, exec_lo, s1
	v_mov_b32_e32 v1, 0
	v_mov_b32_e32 v2, 0
.LBB29_440:
	v_sub_nc_u32_e32 v0, v4, v1
	s_xor_b32 s0, s10, -1
	s_xor_b32 s1, s11, -1
	;; [unrolled: 1-line block ×5, first 2 shown]
	s_barrier
	buffer_gl0_inv
	s_and_saveexec_b32 s5, s15
	s_cbranch_execnz .LBB29_468
; %bb.441:
	s_or_b32 exec_lo, exec_lo, s5
	s_and_saveexec_b32 s5, s4
	s_cbranch_execnz .LBB29_469
.LBB29_442:
	s_or_b32 exec_lo, exec_lo, s5
	s_and_saveexec_b32 s4, s3
	s_cbranch_execnz .LBB29_470
.LBB29_443:
	s_or_b32 exec_lo, exec_lo, s4
	s_and_saveexec_b32 s3, s2
	s_cbranch_execnz .LBB29_471
.LBB29_444:
	s_or_b32 exec_lo, exec_lo, s3
	s_and_saveexec_b32 s2, s1
	s_cbranch_execnz .LBB29_472
.LBB29_445:
	s_or_b32 exec_lo, exec_lo, s2
	s_and_saveexec_b32 s1, s0
.LBB29_446:
	v_lshlrev_b32_e32 v1, 2, v0
	v_add_nc_u32_e32 v0, 1, v0
	ds_write_b32 v1, v23 offset:1024
.LBB29_447:
	s_or_b32 exec_lo, exec_lo, s1
	v_and_b32_e32 v1, 64, v39
	s_mov_b32 s0, exec_lo
	v_cmpx_ne_u32_e32 0, v1
; %bb.448:
	v_lshlrev_b32_e32 v1, 2, v0
	v_add_nc_u32_e32 v0, 1, v0
	ds_write_b32 v1, v24 offset:1024
; %bb.449:
	s_or_b32 exec_lo, exec_lo, s0
	v_and_b32_e32 v1, 0x80, v38
	s_mov_b32 s0, exec_lo
	v_cmpx_ne_u32_e32 0, v1
; %bb.450:
	v_lshlrev_b32_e32 v1, 2, v0
	v_add_nc_u32_e32 v0, 1, v0
	ds_write_b32 v1, v25 offset:1024
; %bb.451:
	;; [unrolled: 9-line block ×9, first 2 shown]
	s_or_b32 exec_lo, exec_lo, s0
	v_and_b32_e32 v1, 0x8000, v34
	s_mov_b32 s0, exec_lo
	v_cmpx_ne_u32_e32 0, v1
; %bb.466:
	v_lshlrev_b32_e32 v0, 2, v0
	ds_write_b32 v0, v33 offset:1024
; %bb.467:
	s_or_b32 exec_lo, exec_lo, s0
	s_waitcnt lgkmcnt(0)
	s_barrier
	buffer_gl0_inv
	s_endpgm
.LBB29_468:
	v_add_nc_u32_e32 v1, 1, v0
	v_lshlrev_b32_e32 v2, 2, v0
	v_mov_b32_e32 v0, v1
	ds_write_b32 v2, v18 offset:1024
	s_or_b32 exec_lo, exec_lo, s5
	s_and_saveexec_b32 s5, s4
	s_cbranch_execz .LBB29_442
.LBB29_469:
	v_lshlrev_b32_e32 v1, 2, v0
	v_add_nc_u32_e32 v0, 1, v0
	ds_write_b32 v1, v17 offset:1024
	s_or_b32 exec_lo, exec_lo, s5
	s_and_saveexec_b32 s4, s3
	s_cbranch_execz .LBB29_443
.LBB29_470:
	v_lshlrev_b32_e32 v1, 2, v0
	v_add_nc_u32_e32 v0, 1, v0
	ds_write_b32 v1, v19 offset:1024
	s_or_b32 exec_lo, exec_lo, s4
	s_and_saveexec_b32 s3, s2
	s_cbranch_execz .LBB29_444
.LBB29_471:
	v_lshlrev_b32_e32 v1, 2, v0
	v_add_nc_u32_e32 v0, 1, v0
	ds_write_b32 v1, v20 offset:1024
	s_or_b32 exec_lo, exec_lo, s3
	s_and_saveexec_b32 s2, s1
	s_cbranch_execz .LBB29_445
.LBB29_472:
	v_lshlrev_b32_e32 v1, 2, v0
	v_add_nc_u32_e32 v0, 1, v0
	ds_write_b32 v1, v21 offset:1024
	s_or_b32 exec_lo, exec_lo, s2
	s_and_saveexec_b32 s1, s0
	s_cbranch_execnz .LBB29_446
	s_branch .LBB29_447
	.section	.rodata,"a",@progbits
	.p2align	6, 0x0
	.amdhsa_kernel _ZN6thrust23THRUST_200600_302600_NS11hip_rocprim16__set_operations22lookback_set_op_kernelIN7rocprim17ROCPRIM_400000_NS13kernel_configILj256ELj16ELj4294967295EEELb0ENS0_6detail15normal_iteratorINS0_10device_ptrIKiEEEESD_PiSE_lNS0_16discard_iteratorINS0_11use_defaultEEESE_NS0_4lessIiEENS2_23serial_set_intersectionENS5_6detail19lookback_scan_stateIlLb0ELb1EEEEEvT1_T2_T3_T4_T6_T7_T8_T9_PNS0_4pairIT5_SX_EEPSX_T10_NSL_16ordered_block_idIjEE
		.amdhsa_group_segment_fixed_size 36868
		.amdhsa_private_segment_fixed_size 0
		.amdhsa_kernarg_size 352
		.amdhsa_user_sgpr_count 6
		.amdhsa_user_sgpr_private_segment_buffer 1
		.amdhsa_user_sgpr_dispatch_ptr 0
		.amdhsa_user_sgpr_queue_ptr 0
		.amdhsa_user_sgpr_kernarg_segment_ptr 1
		.amdhsa_user_sgpr_dispatch_id 0
		.amdhsa_user_sgpr_flat_scratch_init 0
		.amdhsa_user_sgpr_private_segment_size 0
		.amdhsa_wavefront_size32 1
		.amdhsa_uses_dynamic_stack 0
		.amdhsa_system_sgpr_private_segment_wavefront_offset 0
		.amdhsa_system_sgpr_workgroup_id_x 1
		.amdhsa_system_sgpr_workgroup_id_y 0
		.amdhsa_system_sgpr_workgroup_id_z 0
		.amdhsa_system_sgpr_workgroup_info 0
		.amdhsa_system_vgpr_workitem_id 2
		.amdhsa_next_free_vgpr 145
		.amdhsa_next_free_sgpr 42
		.amdhsa_reserve_vcc 1
		.amdhsa_reserve_flat_scratch 0
		.amdhsa_float_round_mode_32 0
		.amdhsa_float_round_mode_16_64 0
		.amdhsa_float_denorm_mode_32 3
		.amdhsa_float_denorm_mode_16_64 3
		.amdhsa_dx10_clamp 1
		.amdhsa_ieee_mode 1
		.amdhsa_fp16_overflow 0
		.amdhsa_workgroup_processor_mode 1
		.amdhsa_memory_ordered 1
		.amdhsa_forward_progress 1
		.amdhsa_shared_vgpr_count 0
		.amdhsa_exception_fp_ieee_invalid_op 0
		.amdhsa_exception_fp_denorm_src 0
		.amdhsa_exception_fp_ieee_div_zero 0
		.amdhsa_exception_fp_ieee_overflow 0
		.amdhsa_exception_fp_ieee_underflow 0
		.amdhsa_exception_fp_ieee_inexact 0
		.amdhsa_exception_int_div_zero 0
	.end_amdhsa_kernel
	.section	.text._ZN6thrust23THRUST_200600_302600_NS11hip_rocprim16__set_operations22lookback_set_op_kernelIN7rocprim17ROCPRIM_400000_NS13kernel_configILj256ELj16ELj4294967295EEELb0ENS0_6detail15normal_iteratorINS0_10device_ptrIKiEEEESD_PiSE_lNS0_16discard_iteratorINS0_11use_defaultEEESE_NS0_4lessIiEENS2_23serial_set_intersectionENS5_6detail19lookback_scan_stateIlLb0ELb1EEEEEvT1_T2_T3_T4_T6_T7_T8_T9_PNS0_4pairIT5_SX_EEPSX_T10_NSL_16ordered_block_idIjEE,"axG",@progbits,_ZN6thrust23THRUST_200600_302600_NS11hip_rocprim16__set_operations22lookback_set_op_kernelIN7rocprim17ROCPRIM_400000_NS13kernel_configILj256ELj16ELj4294967295EEELb0ENS0_6detail15normal_iteratorINS0_10device_ptrIKiEEEESD_PiSE_lNS0_16discard_iteratorINS0_11use_defaultEEESE_NS0_4lessIiEENS2_23serial_set_intersectionENS5_6detail19lookback_scan_stateIlLb0ELb1EEEEEvT1_T2_T3_T4_T6_T7_T8_T9_PNS0_4pairIT5_SX_EEPSX_T10_NSL_16ordered_block_idIjEE,comdat
.Lfunc_end29:
	.size	_ZN6thrust23THRUST_200600_302600_NS11hip_rocprim16__set_operations22lookback_set_op_kernelIN7rocprim17ROCPRIM_400000_NS13kernel_configILj256ELj16ELj4294967295EEELb0ENS0_6detail15normal_iteratorINS0_10device_ptrIKiEEEESD_PiSE_lNS0_16discard_iteratorINS0_11use_defaultEEESE_NS0_4lessIiEENS2_23serial_set_intersectionENS5_6detail19lookback_scan_stateIlLb0ELb1EEEEEvT1_T2_T3_T4_T6_T7_T8_T9_PNS0_4pairIT5_SX_EEPSX_T10_NSL_16ordered_block_idIjEE, .Lfunc_end29-_ZN6thrust23THRUST_200600_302600_NS11hip_rocprim16__set_operations22lookback_set_op_kernelIN7rocprim17ROCPRIM_400000_NS13kernel_configILj256ELj16ELj4294967295EEELb0ENS0_6detail15normal_iteratorINS0_10device_ptrIKiEEEESD_PiSE_lNS0_16discard_iteratorINS0_11use_defaultEEESE_NS0_4lessIiEENS2_23serial_set_intersectionENS5_6detail19lookback_scan_stateIlLb0ELb1EEEEEvT1_T2_T3_T4_T6_T7_T8_T9_PNS0_4pairIT5_SX_EEPSX_T10_NSL_16ordered_block_idIjEE
                                        ; -- End function
	.set _ZN6thrust23THRUST_200600_302600_NS11hip_rocprim16__set_operations22lookback_set_op_kernelIN7rocprim17ROCPRIM_400000_NS13kernel_configILj256ELj16ELj4294967295EEELb0ENS0_6detail15normal_iteratorINS0_10device_ptrIKiEEEESD_PiSE_lNS0_16discard_iteratorINS0_11use_defaultEEESE_NS0_4lessIiEENS2_23serial_set_intersectionENS5_6detail19lookback_scan_stateIlLb0ELb1EEEEEvT1_T2_T3_T4_T6_T7_T8_T9_PNS0_4pairIT5_SX_EEPSX_T10_NSL_16ordered_block_idIjEE.num_vgpr, 74
	.set _ZN6thrust23THRUST_200600_302600_NS11hip_rocprim16__set_operations22lookback_set_op_kernelIN7rocprim17ROCPRIM_400000_NS13kernel_configILj256ELj16ELj4294967295EEELb0ENS0_6detail15normal_iteratorINS0_10device_ptrIKiEEEESD_PiSE_lNS0_16discard_iteratorINS0_11use_defaultEEESE_NS0_4lessIiEENS2_23serial_set_intersectionENS5_6detail19lookback_scan_stateIlLb0ELb1EEEEEvT1_T2_T3_T4_T6_T7_T8_T9_PNS0_4pairIT5_SX_EEPSX_T10_NSL_16ordered_block_idIjEE.num_agpr, 0
	.set _ZN6thrust23THRUST_200600_302600_NS11hip_rocprim16__set_operations22lookback_set_op_kernelIN7rocprim17ROCPRIM_400000_NS13kernel_configILj256ELj16ELj4294967295EEELb0ENS0_6detail15normal_iteratorINS0_10device_ptrIKiEEEESD_PiSE_lNS0_16discard_iteratorINS0_11use_defaultEEESE_NS0_4lessIiEENS2_23serial_set_intersectionENS5_6detail19lookback_scan_stateIlLb0ELb1EEEEEvT1_T2_T3_T4_T6_T7_T8_T9_PNS0_4pairIT5_SX_EEPSX_T10_NSL_16ordered_block_idIjEE.numbered_sgpr, 42
	.set _ZN6thrust23THRUST_200600_302600_NS11hip_rocprim16__set_operations22lookback_set_op_kernelIN7rocprim17ROCPRIM_400000_NS13kernel_configILj256ELj16ELj4294967295EEELb0ENS0_6detail15normal_iteratorINS0_10device_ptrIKiEEEESD_PiSE_lNS0_16discard_iteratorINS0_11use_defaultEEESE_NS0_4lessIiEENS2_23serial_set_intersectionENS5_6detail19lookback_scan_stateIlLb0ELb1EEEEEvT1_T2_T3_T4_T6_T7_T8_T9_PNS0_4pairIT5_SX_EEPSX_T10_NSL_16ordered_block_idIjEE.num_named_barrier, 0
	.set _ZN6thrust23THRUST_200600_302600_NS11hip_rocprim16__set_operations22lookback_set_op_kernelIN7rocprim17ROCPRIM_400000_NS13kernel_configILj256ELj16ELj4294967295EEELb0ENS0_6detail15normal_iteratorINS0_10device_ptrIKiEEEESD_PiSE_lNS0_16discard_iteratorINS0_11use_defaultEEESE_NS0_4lessIiEENS2_23serial_set_intersectionENS5_6detail19lookback_scan_stateIlLb0ELb1EEEEEvT1_T2_T3_T4_T6_T7_T8_T9_PNS0_4pairIT5_SX_EEPSX_T10_NSL_16ordered_block_idIjEE.private_seg_size, 0
	.set _ZN6thrust23THRUST_200600_302600_NS11hip_rocprim16__set_operations22lookback_set_op_kernelIN7rocprim17ROCPRIM_400000_NS13kernel_configILj256ELj16ELj4294967295EEELb0ENS0_6detail15normal_iteratorINS0_10device_ptrIKiEEEESD_PiSE_lNS0_16discard_iteratorINS0_11use_defaultEEESE_NS0_4lessIiEENS2_23serial_set_intersectionENS5_6detail19lookback_scan_stateIlLb0ELb1EEEEEvT1_T2_T3_T4_T6_T7_T8_T9_PNS0_4pairIT5_SX_EEPSX_T10_NSL_16ordered_block_idIjEE.uses_vcc, 1
	.set _ZN6thrust23THRUST_200600_302600_NS11hip_rocprim16__set_operations22lookback_set_op_kernelIN7rocprim17ROCPRIM_400000_NS13kernel_configILj256ELj16ELj4294967295EEELb0ENS0_6detail15normal_iteratorINS0_10device_ptrIKiEEEESD_PiSE_lNS0_16discard_iteratorINS0_11use_defaultEEESE_NS0_4lessIiEENS2_23serial_set_intersectionENS5_6detail19lookback_scan_stateIlLb0ELb1EEEEEvT1_T2_T3_T4_T6_T7_T8_T9_PNS0_4pairIT5_SX_EEPSX_T10_NSL_16ordered_block_idIjEE.uses_flat_scratch, 0
	.set _ZN6thrust23THRUST_200600_302600_NS11hip_rocprim16__set_operations22lookback_set_op_kernelIN7rocprim17ROCPRIM_400000_NS13kernel_configILj256ELj16ELj4294967295EEELb0ENS0_6detail15normal_iteratorINS0_10device_ptrIKiEEEESD_PiSE_lNS0_16discard_iteratorINS0_11use_defaultEEESE_NS0_4lessIiEENS2_23serial_set_intersectionENS5_6detail19lookback_scan_stateIlLb0ELb1EEEEEvT1_T2_T3_T4_T6_T7_T8_T9_PNS0_4pairIT5_SX_EEPSX_T10_NSL_16ordered_block_idIjEE.has_dyn_sized_stack, 0
	.set _ZN6thrust23THRUST_200600_302600_NS11hip_rocprim16__set_operations22lookback_set_op_kernelIN7rocprim17ROCPRIM_400000_NS13kernel_configILj256ELj16ELj4294967295EEELb0ENS0_6detail15normal_iteratorINS0_10device_ptrIKiEEEESD_PiSE_lNS0_16discard_iteratorINS0_11use_defaultEEESE_NS0_4lessIiEENS2_23serial_set_intersectionENS5_6detail19lookback_scan_stateIlLb0ELb1EEEEEvT1_T2_T3_T4_T6_T7_T8_T9_PNS0_4pairIT5_SX_EEPSX_T10_NSL_16ordered_block_idIjEE.has_recursion, 0
	.set _ZN6thrust23THRUST_200600_302600_NS11hip_rocprim16__set_operations22lookback_set_op_kernelIN7rocprim17ROCPRIM_400000_NS13kernel_configILj256ELj16ELj4294967295EEELb0ENS0_6detail15normal_iteratorINS0_10device_ptrIKiEEEESD_PiSE_lNS0_16discard_iteratorINS0_11use_defaultEEESE_NS0_4lessIiEENS2_23serial_set_intersectionENS5_6detail19lookback_scan_stateIlLb0ELb1EEEEEvT1_T2_T3_T4_T6_T7_T8_T9_PNS0_4pairIT5_SX_EEPSX_T10_NSL_16ordered_block_idIjEE.has_indirect_call, 0
	.section	.AMDGPU.csdata,"",@progbits
; Kernel info:
; codeLenInByte = 18452
; TotalNumSgprs: 44
; NumVgprs: 74
; ScratchSize: 0
; MemoryBound: 0
; FloatMode: 240
; IeeeMode: 1
; LDSByteSize: 36868 bytes/workgroup (compile time only)
; SGPRBlocks: 0
; VGPRBlocks: 18
; NumSGPRsForWavesPerEU: 44
; NumVGPRsForWavesPerEU: 145
; Occupancy: 6
; WaveLimiterHint : 1
; COMPUTE_PGM_RSRC2:SCRATCH_EN: 0
; COMPUTE_PGM_RSRC2:USER_SGPR: 6
; COMPUTE_PGM_RSRC2:TRAP_HANDLER: 0
; COMPUTE_PGM_RSRC2:TGID_X_EN: 1
; COMPUTE_PGM_RSRC2:TGID_Y_EN: 0
; COMPUTE_PGM_RSRC2:TGID_Z_EN: 0
; COMPUTE_PGM_RSRC2:TIDIG_COMP_CNT: 2
	.section	.AMDGPU.gpr_maximums,"",@progbits
	.set amdgpu.max_num_vgpr, 0
	.set amdgpu.max_num_agpr, 0
	.set amdgpu.max_num_sgpr, 0
	.section	.AMDGPU.csdata,"",@progbits
	.type	__hip_cuid_25c9d7c3d77b357f,@object ; @__hip_cuid_25c9d7c3d77b357f
	.section	.bss,"aw",@nobits
	.globl	__hip_cuid_25c9d7c3d77b357f
__hip_cuid_25c9d7c3d77b357f:
	.byte	0                               ; 0x0
	.size	__hip_cuid_25c9d7c3d77b357f, 1

	.ident	"AMD clang version 22.0.0git (https://github.com/RadeonOpenCompute/llvm-project roc-7.2.4 26084 f58b06dce1f9c15707c5f808fd002e18c2accf7e)"
	.section	".note.GNU-stack","",@progbits
	.addrsig
	.addrsig_sym __hip_cuid_25c9d7c3d77b357f
	.amdgpu_metadata
---
amdhsa.kernels:
  - .args:
      - .offset:         0
        .size:           16
        .value_kind:     by_value
      - .offset:         16
        .size:           8
        .value_kind:     by_value
      - .offset:         24
        .size:           8
        .value_kind:     by_value
    .group_segment_fixed_size: 0
    .kernarg_segment_align: 8
    .kernarg_segment_size: 32
    .language:       OpenCL C
    .language_version:
      - 2
      - 0
    .max_flat_workgroup_size: 256
    .name:           _ZN6thrust23THRUST_200600_302600_NS11hip_rocprim14__parallel_for6kernelILj256ENS1_20__uninitialized_fill7functorINS0_10device_ptrIiEEiEEmLj1EEEvT0_T1_SA_
    .private_segment_fixed_size: 0
    .sgpr_count:     14
    .sgpr_spill_count: 0
    .symbol:         _ZN6thrust23THRUST_200600_302600_NS11hip_rocprim14__parallel_for6kernelILj256ENS1_20__uninitialized_fill7functorINS0_10device_ptrIiEEiEEmLj1EEEvT0_T1_SA_.kd
    .uniform_work_group_size: 1
    .uses_dynamic_stack: false
    .vgpr_count:     4
    .vgpr_spill_count: 0
    .wavefront_size: 32
    .workgroup_processor_mode: 1
  - .args:
      - .offset:         0
        .size:           48
        .value_kind:     by_value
    .group_segment_fixed_size: 0
    .kernarg_segment_align: 8
    .kernarg_segment_size: 48
    .language:       OpenCL C
    .language_version:
      - 2
      - 0
    .max_flat_workgroup_size: 256
    .name:           _ZN7rocprim17ROCPRIM_400000_NS6detail17trampoline_kernelINS0_14default_configENS1_21merge_config_selectorIiNS0_10empty_typeEEEZNS1_10merge_implIS3_N6thrust23THRUST_200600_302600_NS6detail15normal_iteratorINS9_10device_ptrIKiEEEESF_NSB_INSC_IiEEEEPS5_SI_SI_NS9_4lessIiEEEE10hipError_tPvRmT0_T1_T2_T3_T4_T5_mmT6_P12ihipStream_tbEUlT_E_NS1_11comp_targetILNS1_3genE0ELNS1_11target_archE4294967295ELNS1_3gpuE0ELNS1_3repE0EEENS1_30default_config_static_selectorELNS0_4arch9wavefront6targetE0EEEvSP_
    .private_segment_fixed_size: 0
    .sgpr_count:     0
    .sgpr_spill_count: 0
    .symbol:         _ZN7rocprim17ROCPRIM_400000_NS6detail17trampoline_kernelINS0_14default_configENS1_21merge_config_selectorIiNS0_10empty_typeEEEZNS1_10merge_implIS3_N6thrust23THRUST_200600_302600_NS6detail15normal_iteratorINS9_10device_ptrIKiEEEESF_NSB_INSC_IiEEEEPS5_SI_SI_NS9_4lessIiEEEE10hipError_tPvRmT0_T1_T2_T3_T4_T5_mmT6_P12ihipStream_tbEUlT_E_NS1_11comp_targetILNS1_3genE0ELNS1_11target_archE4294967295ELNS1_3gpuE0ELNS1_3repE0EEENS1_30default_config_static_selectorELNS0_4arch9wavefront6targetE0EEEvSP_.kd
    .uniform_work_group_size: 1
    .uses_dynamic_stack: false
    .vgpr_count:     0
    .vgpr_spill_count: 0
    .wavefront_size: 32
    .workgroup_processor_mode: 1
  - .args:
      - .offset:         0
        .size:           48
        .value_kind:     by_value
    .group_segment_fixed_size: 0
    .kernarg_segment_align: 8
    .kernarg_segment_size: 48
    .language:       OpenCL C
    .language_version:
      - 2
      - 0
    .max_flat_workgroup_size: 256
    .name:           _ZN7rocprim17ROCPRIM_400000_NS6detail17trampoline_kernelINS0_14default_configENS1_21merge_config_selectorIiNS0_10empty_typeEEEZNS1_10merge_implIS3_N6thrust23THRUST_200600_302600_NS6detail15normal_iteratorINS9_10device_ptrIKiEEEESF_NSB_INSC_IiEEEEPS5_SI_SI_NS9_4lessIiEEEE10hipError_tPvRmT0_T1_T2_T3_T4_T5_mmT6_P12ihipStream_tbEUlT_E_NS1_11comp_targetILNS1_3genE5ELNS1_11target_archE942ELNS1_3gpuE9ELNS1_3repE0EEENS1_30default_config_static_selectorELNS0_4arch9wavefront6targetE0EEEvSP_
    .private_segment_fixed_size: 0
    .sgpr_count:     0
    .sgpr_spill_count: 0
    .symbol:         _ZN7rocprim17ROCPRIM_400000_NS6detail17trampoline_kernelINS0_14default_configENS1_21merge_config_selectorIiNS0_10empty_typeEEEZNS1_10merge_implIS3_N6thrust23THRUST_200600_302600_NS6detail15normal_iteratorINS9_10device_ptrIKiEEEESF_NSB_INSC_IiEEEEPS5_SI_SI_NS9_4lessIiEEEE10hipError_tPvRmT0_T1_T2_T3_T4_T5_mmT6_P12ihipStream_tbEUlT_E_NS1_11comp_targetILNS1_3genE5ELNS1_11target_archE942ELNS1_3gpuE9ELNS1_3repE0EEENS1_30default_config_static_selectorELNS0_4arch9wavefront6targetE0EEEvSP_.kd
    .uniform_work_group_size: 1
    .uses_dynamic_stack: false
    .vgpr_count:     0
    .vgpr_spill_count: 0
    .wavefront_size: 32
    .workgroup_processor_mode: 1
  - .args:
      - .offset:         0
        .size:           48
        .value_kind:     by_value
    .group_segment_fixed_size: 0
    .kernarg_segment_align: 8
    .kernarg_segment_size: 48
    .language:       OpenCL C
    .language_version:
      - 2
      - 0
    .max_flat_workgroup_size: 256
    .name:           _ZN7rocprim17ROCPRIM_400000_NS6detail17trampoline_kernelINS0_14default_configENS1_21merge_config_selectorIiNS0_10empty_typeEEEZNS1_10merge_implIS3_N6thrust23THRUST_200600_302600_NS6detail15normal_iteratorINS9_10device_ptrIKiEEEESF_NSB_INSC_IiEEEEPS5_SI_SI_NS9_4lessIiEEEE10hipError_tPvRmT0_T1_T2_T3_T4_T5_mmT6_P12ihipStream_tbEUlT_E_NS1_11comp_targetILNS1_3genE4ELNS1_11target_archE910ELNS1_3gpuE8ELNS1_3repE0EEENS1_30default_config_static_selectorELNS0_4arch9wavefront6targetE0EEEvSP_
    .private_segment_fixed_size: 0
    .sgpr_count:     0
    .sgpr_spill_count: 0
    .symbol:         _ZN7rocprim17ROCPRIM_400000_NS6detail17trampoline_kernelINS0_14default_configENS1_21merge_config_selectorIiNS0_10empty_typeEEEZNS1_10merge_implIS3_N6thrust23THRUST_200600_302600_NS6detail15normal_iteratorINS9_10device_ptrIKiEEEESF_NSB_INSC_IiEEEEPS5_SI_SI_NS9_4lessIiEEEE10hipError_tPvRmT0_T1_T2_T3_T4_T5_mmT6_P12ihipStream_tbEUlT_E_NS1_11comp_targetILNS1_3genE4ELNS1_11target_archE910ELNS1_3gpuE8ELNS1_3repE0EEENS1_30default_config_static_selectorELNS0_4arch9wavefront6targetE0EEEvSP_.kd
    .uniform_work_group_size: 1
    .uses_dynamic_stack: false
    .vgpr_count:     0
    .vgpr_spill_count: 0
    .wavefront_size: 32
    .workgroup_processor_mode: 1
  - .args:
      - .offset:         0
        .size:           48
        .value_kind:     by_value
    .group_segment_fixed_size: 0
    .kernarg_segment_align: 8
    .kernarg_segment_size: 48
    .language:       OpenCL C
    .language_version:
      - 2
      - 0
    .max_flat_workgroup_size: 256
    .name:           _ZN7rocprim17ROCPRIM_400000_NS6detail17trampoline_kernelINS0_14default_configENS1_21merge_config_selectorIiNS0_10empty_typeEEEZNS1_10merge_implIS3_N6thrust23THRUST_200600_302600_NS6detail15normal_iteratorINS9_10device_ptrIKiEEEESF_NSB_INSC_IiEEEEPS5_SI_SI_NS9_4lessIiEEEE10hipError_tPvRmT0_T1_T2_T3_T4_T5_mmT6_P12ihipStream_tbEUlT_E_NS1_11comp_targetILNS1_3genE3ELNS1_11target_archE908ELNS1_3gpuE7ELNS1_3repE0EEENS1_30default_config_static_selectorELNS0_4arch9wavefront6targetE0EEEvSP_
    .private_segment_fixed_size: 0
    .sgpr_count:     0
    .sgpr_spill_count: 0
    .symbol:         _ZN7rocprim17ROCPRIM_400000_NS6detail17trampoline_kernelINS0_14default_configENS1_21merge_config_selectorIiNS0_10empty_typeEEEZNS1_10merge_implIS3_N6thrust23THRUST_200600_302600_NS6detail15normal_iteratorINS9_10device_ptrIKiEEEESF_NSB_INSC_IiEEEEPS5_SI_SI_NS9_4lessIiEEEE10hipError_tPvRmT0_T1_T2_T3_T4_T5_mmT6_P12ihipStream_tbEUlT_E_NS1_11comp_targetILNS1_3genE3ELNS1_11target_archE908ELNS1_3gpuE7ELNS1_3repE0EEENS1_30default_config_static_selectorELNS0_4arch9wavefront6targetE0EEEvSP_.kd
    .uniform_work_group_size: 1
    .uses_dynamic_stack: false
    .vgpr_count:     0
    .vgpr_spill_count: 0
    .wavefront_size: 32
    .workgroup_processor_mode: 1
  - .args:
      - .offset:         0
        .size:           48
        .value_kind:     by_value
    .group_segment_fixed_size: 0
    .kernarg_segment_align: 8
    .kernarg_segment_size: 48
    .language:       OpenCL C
    .language_version:
      - 2
      - 0
    .max_flat_workgroup_size: 256
    .name:           _ZN7rocprim17ROCPRIM_400000_NS6detail17trampoline_kernelINS0_14default_configENS1_21merge_config_selectorIiNS0_10empty_typeEEEZNS1_10merge_implIS3_N6thrust23THRUST_200600_302600_NS6detail15normal_iteratorINS9_10device_ptrIKiEEEESF_NSB_INSC_IiEEEEPS5_SI_SI_NS9_4lessIiEEEE10hipError_tPvRmT0_T1_T2_T3_T4_T5_mmT6_P12ihipStream_tbEUlT_E_NS1_11comp_targetILNS1_3genE2ELNS1_11target_archE906ELNS1_3gpuE6ELNS1_3repE0EEENS1_30default_config_static_selectorELNS0_4arch9wavefront6targetE0EEEvSP_
    .private_segment_fixed_size: 0
    .sgpr_count:     0
    .sgpr_spill_count: 0
    .symbol:         _ZN7rocprim17ROCPRIM_400000_NS6detail17trampoline_kernelINS0_14default_configENS1_21merge_config_selectorIiNS0_10empty_typeEEEZNS1_10merge_implIS3_N6thrust23THRUST_200600_302600_NS6detail15normal_iteratorINS9_10device_ptrIKiEEEESF_NSB_INSC_IiEEEEPS5_SI_SI_NS9_4lessIiEEEE10hipError_tPvRmT0_T1_T2_T3_T4_T5_mmT6_P12ihipStream_tbEUlT_E_NS1_11comp_targetILNS1_3genE2ELNS1_11target_archE906ELNS1_3gpuE6ELNS1_3repE0EEENS1_30default_config_static_selectorELNS0_4arch9wavefront6targetE0EEEvSP_.kd
    .uniform_work_group_size: 1
    .uses_dynamic_stack: false
    .vgpr_count:     0
    .vgpr_spill_count: 0
    .wavefront_size: 32
    .workgroup_processor_mode: 1
  - .args:
      - .offset:         0
        .size:           48
        .value_kind:     by_value
    .group_segment_fixed_size: 0
    .kernarg_segment_align: 8
    .kernarg_segment_size: 48
    .language:       OpenCL C
    .language_version:
      - 2
      - 0
    .max_flat_workgroup_size: 1024
    .name:           _ZN7rocprim17ROCPRIM_400000_NS6detail17trampoline_kernelINS0_14default_configENS1_21merge_config_selectorIiNS0_10empty_typeEEEZNS1_10merge_implIS3_N6thrust23THRUST_200600_302600_NS6detail15normal_iteratorINS9_10device_ptrIKiEEEESF_NSB_INSC_IiEEEEPS5_SI_SI_NS9_4lessIiEEEE10hipError_tPvRmT0_T1_T2_T3_T4_T5_mmT6_P12ihipStream_tbEUlT_E_NS1_11comp_targetILNS1_3genE10ELNS1_11target_archE1201ELNS1_3gpuE5ELNS1_3repE0EEENS1_30default_config_static_selectorELNS0_4arch9wavefront6targetE0EEEvSP_
    .private_segment_fixed_size: 0
    .sgpr_count:     0
    .sgpr_spill_count: 0
    .symbol:         _ZN7rocprim17ROCPRIM_400000_NS6detail17trampoline_kernelINS0_14default_configENS1_21merge_config_selectorIiNS0_10empty_typeEEEZNS1_10merge_implIS3_N6thrust23THRUST_200600_302600_NS6detail15normal_iteratorINS9_10device_ptrIKiEEEESF_NSB_INSC_IiEEEEPS5_SI_SI_NS9_4lessIiEEEE10hipError_tPvRmT0_T1_T2_T3_T4_T5_mmT6_P12ihipStream_tbEUlT_E_NS1_11comp_targetILNS1_3genE10ELNS1_11target_archE1201ELNS1_3gpuE5ELNS1_3repE0EEENS1_30default_config_static_selectorELNS0_4arch9wavefront6targetE0EEEvSP_.kd
    .uniform_work_group_size: 1
    .uses_dynamic_stack: false
    .vgpr_count:     0
    .vgpr_spill_count: 0
    .wavefront_size: 32
    .workgroup_processor_mode: 1
  - .args:
      - .offset:         0
        .size:           48
        .value_kind:     by_value
    .group_segment_fixed_size: 0
    .kernarg_segment_align: 8
    .kernarg_segment_size: 48
    .language:       OpenCL C
    .language_version:
      - 2
      - 0
    .max_flat_workgroup_size: 1024
    .name:           _ZN7rocprim17ROCPRIM_400000_NS6detail17trampoline_kernelINS0_14default_configENS1_21merge_config_selectorIiNS0_10empty_typeEEEZNS1_10merge_implIS3_N6thrust23THRUST_200600_302600_NS6detail15normal_iteratorINS9_10device_ptrIKiEEEESF_NSB_INSC_IiEEEEPS5_SI_SI_NS9_4lessIiEEEE10hipError_tPvRmT0_T1_T2_T3_T4_T5_mmT6_P12ihipStream_tbEUlT_E_NS1_11comp_targetILNS1_3genE10ELNS1_11target_archE1200ELNS1_3gpuE4ELNS1_3repE0EEENS1_30default_config_static_selectorELNS0_4arch9wavefront6targetE0EEEvSP_
    .private_segment_fixed_size: 0
    .sgpr_count:     0
    .sgpr_spill_count: 0
    .symbol:         _ZN7rocprim17ROCPRIM_400000_NS6detail17trampoline_kernelINS0_14default_configENS1_21merge_config_selectorIiNS0_10empty_typeEEEZNS1_10merge_implIS3_N6thrust23THRUST_200600_302600_NS6detail15normal_iteratorINS9_10device_ptrIKiEEEESF_NSB_INSC_IiEEEEPS5_SI_SI_NS9_4lessIiEEEE10hipError_tPvRmT0_T1_T2_T3_T4_T5_mmT6_P12ihipStream_tbEUlT_E_NS1_11comp_targetILNS1_3genE10ELNS1_11target_archE1200ELNS1_3gpuE4ELNS1_3repE0EEENS1_30default_config_static_selectorELNS0_4arch9wavefront6targetE0EEEvSP_.kd
    .uniform_work_group_size: 1
    .uses_dynamic_stack: false
    .vgpr_count:     0
    .vgpr_spill_count: 0
    .wavefront_size: 32
    .workgroup_processor_mode: 1
  - .args:
      - .offset:         0
        .size:           48
        .value_kind:     by_value
    .group_segment_fixed_size: 0
    .kernarg_segment_align: 8
    .kernarg_segment_size: 48
    .language:       OpenCL C
    .language_version:
      - 2
      - 0
    .max_flat_workgroup_size: 1024
    .name:           _ZN7rocprim17ROCPRIM_400000_NS6detail17trampoline_kernelINS0_14default_configENS1_21merge_config_selectorIiNS0_10empty_typeEEEZNS1_10merge_implIS3_N6thrust23THRUST_200600_302600_NS6detail15normal_iteratorINS9_10device_ptrIKiEEEESF_NSB_INSC_IiEEEEPS5_SI_SI_NS9_4lessIiEEEE10hipError_tPvRmT0_T1_T2_T3_T4_T5_mmT6_P12ihipStream_tbEUlT_E_NS1_11comp_targetILNS1_3genE9ELNS1_11target_archE1100ELNS1_3gpuE3ELNS1_3repE0EEENS1_30default_config_static_selectorELNS0_4arch9wavefront6targetE0EEEvSP_
    .private_segment_fixed_size: 0
    .sgpr_count:     0
    .sgpr_spill_count: 0
    .symbol:         _ZN7rocprim17ROCPRIM_400000_NS6detail17trampoline_kernelINS0_14default_configENS1_21merge_config_selectorIiNS0_10empty_typeEEEZNS1_10merge_implIS3_N6thrust23THRUST_200600_302600_NS6detail15normal_iteratorINS9_10device_ptrIKiEEEESF_NSB_INSC_IiEEEEPS5_SI_SI_NS9_4lessIiEEEE10hipError_tPvRmT0_T1_T2_T3_T4_T5_mmT6_P12ihipStream_tbEUlT_E_NS1_11comp_targetILNS1_3genE9ELNS1_11target_archE1100ELNS1_3gpuE3ELNS1_3repE0EEENS1_30default_config_static_selectorELNS0_4arch9wavefront6targetE0EEEvSP_.kd
    .uniform_work_group_size: 1
    .uses_dynamic_stack: false
    .vgpr_count:     0
    .vgpr_spill_count: 0
    .wavefront_size: 32
    .workgroup_processor_mode: 1
  - .args:
      - .offset:         0
        .size:           48
        .value_kind:     by_value
      - .offset:         48
        .size:           4
        .value_kind:     hidden_block_count_x
      - .offset:         52
        .size:           4
        .value_kind:     hidden_block_count_y
      - .offset:         56
        .size:           4
        .value_kind:     hidden_block_count_z
      - .offset:         60
        .size:           2
        .value_kind:     hidden_group_size_x
      - .offset:         62
        .size:           2
        .value_kind:     hidden_group_size_y
      - .offset:         64
        .size:           2
        .value_kind:     hidden_group_size_z
      - .offset:         66
        .size:           2
        .value_kind:     hidden_remainder_x
      - .offset:         68
        .size:           2
        .value_kind:     hidden_remainder_y
      - .offset:         70
        .size:           2
        .value_kind:     hidden_remainder_z
      - .offset:         88
        .size:           8
        .value_kind:     hidden_global_offset_x
      - .offset:         96
        .size:           8
        .value_kind:     hidden_global_offset_y
      - .offset:         104
        .size:           8
        .value_kind:     hidden_global_offset_z
      - .offset:         112
        .size:           2
        .value_kind:     hidden_grid_dims
    .group_segment_fixed_size: 0
    .kernarg_segment_align: 8
    .kernarg_segment_size: 304
    .language:       OpenCL C
    .language_version:
      - 2
      - 0
    .max_flat_workgroup_size: 1024
    .name:           _ZN7rocprim17ROCPRIM_400000_NS6detail17trampoline_kernelINS0_14default_configENS1_21merge_config_selectorIiNS0_10empty_typeEEEZNS1_10merge_implIS3_N6thrust23THRUST_200600_302600_NS6detail15normal_iteratorINS9_10device_ptrIKiEEEESF_NSB_INSC_IiEEEEPS5_SI_SI_NS9_4lessIiEEEE10hipError_tPvRmT0_T1_T2_T3_T4_T5_mmT6_P12ihipStream_tbEUlT_E_NS1_11comp_targetILNS1_3genE8ELNS1_11target_archE1030ELNS1_3gpuE2ELNS1_3repE0EEENS1_30default_config_static_selectorELNS0_4arch9wavefront6targetE0EEEvSP_
    .private_segment_fixed_size: 0
    .sgpr_count:     21
    .sgpr_spill_count: 0
    .symbol:         _ZN7rocprim17ROCPRIM_400000_NS6detail17trampoline_kernelINS0_14default_configENS1_21merge_config_selectorIiNS0_10empty_typeEEEZNS1_10merge_implIS3_N6thrust23THRUST_200600_302600_NS6detail15normal_iteratorINS9_10device_ptrIKiEEEESF_NSB_INSC_IiEEEEPS5_SI_SI_NS9_4lessIiEEEE10hipError_tPvRmT0_T1_T2_T3_T4_T5_mmT6_P12ihipStream_tbEUlT_E_NS1_11comp_targetILNS1_3genE8ELNS1_11target_archE1030ELNS1_3gpuE2ELNS1_3repE0EEENS1_30default_config_static_selectorELNS0_4arch9wavefront6targetE0EEEvSP_.kd
    .uniform_work_group_size: 1
    .uses_dynamic_stack: false
    .vgpr_count:     13
    .vgpr_spill_count: 0
    .wavefront_size: 32
    .workgroup_processor_mode: 1
  - .args:
      - .offset:         0
        .size:           88
        .value_kind:     by_value
    .group_segment_fixed_size: 0
    .kernarg_segment_align: 8
    .kernarg_segment_size: 88
    .language:       OpenCL C
    .language_version:
      - 2
      - 0
    .max_flat_workgroup_size: 256
    .name:           _ZN7rocprim17ROCPRIM_400000_NS6detail17trampoline_kernelINS0_14default_configENS1_21merge_config_selectorIiNS0_10empty_typeEEEZNS1_10merge_implIS3_N6thrust23THRUST_200600_302600_NS6detail15normal_iteratorINS9_10device_ptrIKiEEEESF_NSB_INSC_IiEEEEPS5_SI_SI_NS9_4lessIiEEEE10hipError_tPvRmT0_T1_T2_T3_T4_T5_mmT6_P12ihipStream_tbEUlT_E0_NS1_11comp_targetILNS1_3genE0ELNS1_11target_archE4294967295ELNS1_3gpuE0ELNS1_3repE0EEENS1_30default_config_static_selectorELNS0_4arch9wavefront6targetE0EEEvSP_
    .private_segment_fixed_size: 0
    .sgpr_count:     0
    .sgpr_spill_count: 0
    .symbol:         _ZN7rocprim17ROCPRIM_400000_NS6detail17trampoline_kernelINS0_14default_configENS1_21merge_config_selectorIiNS0_10empty_typeEEEZNS1_10merge_implIS3_N6thrust23THRUST_200600_302600_NS6detail15normal_iteratorINS9_10device_ptrIKiEEEESF_NSB_INSC_IiEEEEPS5_SI_SI_NS9_4lessIiEEEE10hipError_tPvRmT0_T1_T2_T3_T4_T5_mmT6_P12ihipStream_tbEUlT_E0_NS1_11comp_targetILNS1_3genE0ELNS1_11target_archE4294967295ELNS1_3gpuE0ELNS1_3repE0EEENS1_30default_config_static_selectorELNS0_4arch9wavefront6targetE0EEEvSP_.kd
    .uniform_work_group_size: 1
    .uses_dynamic_stack: false
    .vgpr_count:     0
    .vgpr_spill_count: 0
    .wavefront_size: 32
    .workgroup_processor_mode: 1
  - .args:
      - .offset:         0
        .size:           88
        .value_kind:     by_value
    .group_segment_fixed_size: 0
    .kernarg_segment_align: 8
    .kernarg_segment_size: 88
    .language:       OpenCL C
    .language_version:
      - 2
      - 0
    .max_flat_workgroup_size: 256
    .name:           _ZN7rocprim17ROCPRIM_400000_NS6detail17trampoline_kernelINS0_14default_configENS1_21merge_config_selectorIiNS0_10empty_typeEEEZNS1_10merge_implIS3_N6thrust23THRUST_200600_302600_NS6detail15normal_iteratorINS9_10device_ptrIKiEEEESF_NSB_INSC_IiEEEEPS5_SI_SI_NS9_4lessIiEEEE10hipError_tPvRmT0_T1_T2_T3_T4_T5_mmT6_P12ihipStream_tbEUlT_E0_NS1_11comp_targetILNS1_3genE5ELNS1_11target_archE942ELNS1_3gpuE9ELNS1_3repE0EEENS1_30default_config_static_selectorELNS0_4arch9wavefront6targetE0EEEvSP_
    .private_segment_fixed_size: 0
    .sgpr_count:     0
    .sgpr_spill_count: 0
    .symbol:         _ZN7rocprim17ROCPRIM_400000_NS6detail17trampoline_kernelINS0_14default_configENS1_21merge_config_selectorIiNS0_10empty_typeEEEZNS1_10merge_implIS3_N6thrust23THRUST_200600_302600_NS6detail15normal_iteratorINS9_10device_ptrIKiEEEESF_NSB_INSC_IiEEEEPS5_SI_SI_NS9_4lessIiEEEE10hipError_tPvRmT0_T1_T2_T3_T4_T5_mmT6_P12ihipStream_tbEUlT_E0_NS1_11comp_targetILNS1_3genE5ELNS1_11target_archE942ELNS1_3gpuE9ELNS1_3repE0EEENS1_30default_config_static_selectorELNS0_4arch9wavefront6targetE0EEEvSP_.kd
    .uniform_work_group_size: 1
    .uses_dynamic_stack: false
    .vgpr_count:     0
    .vgpr_spill_count: 0
    .wavefront_size: 32
    .workgroup_processor_mode: 1
  - .args:
      - .offset:         0
        .size:           88
        .value_kind:     by_value
    .group_segment_fixed_size: 0
    .kernarg_segment_align: 8
    .kernarg_segment_size: 88
    .language:       OpenCL C
    .language_version:
      - 2
      - 0
    .max_flat_workgroup_size: 256
    .name:           _ZN7rocprim17ROCPRIM_400000_NS6detail17trampoline_kernelINS0_14default_configENS1_21merge_config_selectorIiNS0_10empty_typeEEEZNS1_10merge_implIS3_N6thrust23THRUST_200600_302600_NS6detail15normal_iteratorINS9_10device_ptrIKiEEEESF_NSB_INSC_IiEEEEPS5_SI_SI_NS9_4lessIiEEEE10hipError_tPvRmT0_T1_T2_T3_T4_T5_mmT6_P12ihipStream_tbEUlT_E0_NS1_11comp_targetILNS1_3genE4ELNS1_11target_archE910ELNS1_3gpuE8ELNS1_3repE0EEENS1_30default_config_static_selectorELNS0_4arch9wavefront6targetE0EEEvSP_
    .private_segment_fixed_size: 0
    .sgpr_count:     0
    .sgpr_spill_count: 0
    .symbol:         _ZN7rocprim17ROCPRIM_400000_NS6detail17trampoline_kernelINS0_14default_configENS1_21merge_config_selectorIiNS0_10empty_typeEEEZNS1_10merge_implIS3_N6thrust23THRUST_200600_302600_NS6detail15normal_iteratorINS9_10device_ptrIKiEEEESF_NSB_INSC_IiEEEEPS5_SI_SI_NS9_4lessIiEEEE10hipError_tPvRmT0_T1_T2_T3_T4_T5_mmT6_P12ihipStream_tbEUlT_E0_NS1_11comp_targetILNS1_3genE4ELNS1_11target_archE910ELNS1_3gpuE8ELNS1_3repE0EEENS1_30default_config_static_selectorELNS0_4arch9wavefront6targetE0EEEvSP_.kd
    .uniform_work_group_size: 1
    .uses_dynamic_stack: false
    .vgpr_count:     0
    .vgpr_spill_count: 0
    .wavefront_size: 32
    .workgroup_processor_mode: 1
  - .args:
      - .offset:         0
        .size:           88
        .value_kind:     by_value
    .group_segment_fixed_size: 0
    .kernarg_segment_align: 8
    .kernarg_segment_size: 88
    .language:       OpenCL C
    .language_version:
      - 2
      - 0
    .max_flat_workgroup_size: 256
    .name:           _ZN7rocprim17ROCPRIM_400000_NS6detail17trampoline_kernelINS0_14default_configENS1_21merge_config_selectorIiNS0_10empty_typeEEEZNS1_10merge_implIS3_N6thrust23THRUST_200600_302600_NS6detail15normal_iteratorINS9_10device_ptrIKiEEEESF_NSB_INSC_IiEEEEPS5_SI_SI_NS9_4lessIiEEEE10hipError_tPvRmT0_T1_T2_T3_T4_T5_mmT6_P12ihipStream_tbEUlT_E0_NS1_11comp_targetILNS1_3genE3ELNS1_11target_archE908ELNS1_3gpuE7ELNS1_3repE0EEENS1_30default_config_static_selectorELNS0_4arch9wavefront6targetE0EEEvSP_
    .private_segment_fixed_size: 0
    .sgpr_count:     0
    .sgpr_spill_count: 0
    .symbol:         _ZN7rocprim17ROCPRIM_400000_NS6detail17trampoline_kernelINS0_14default_configENS1_21merge_config_selectorIiNS0_10empty_typeEEEZNS1_10merge_implIS3_N6thrust23THRUST_200600_302600_NS6detail15normal_iteratorINS9_10device_ptrIKiEEEESF_NSB_INSC_IiEEEEPS5_SI_SI_NS9_4lessIiEEEE10hipError_tPvRmT0_T1_T2_T3_T4_T5_mmT6_P12ihipStream_tbEUlT_E0_NS1_11comp_targetILNS1_3genE3ELNS1_11target_archE908ELNS1_3gpuE7ELNS1_3repE0EEENS1_30default_config_static_selectorELNS0_4arch9wavefront6targetE0EEEvSP_.kd
    .uniform_work_group_size: 1
    .uses_dynamic_stack: false
    .vgpr_count:     0
    .vgpr_spill_count: 0
    .wavefront_size: 32
    .workgroup_processor_mode: 1
  - .args:
      - .offset:         0
        .size:           88
        .value_kind:     by_value
    .group_segment_fixed_size: 0
    .kernarg_segment_align: 8
    .kernarg_segment_size: 88
    .language:       OpenCL C
    .language_version:
      - 2
      - 0
    .max_flat_workgroup_size: 256
    .name:           _ZN7rocprim17ROCPRIM_400000_NS6detail17trampoline_kernelINS0_14default_configENS1_21merge_config_selectorIiNS0_10empty_typeEEEZNS1_10merge_implIS3_N6thrust23THRUST_200600_302600_NS6detail15normal_iteratorINS9_10device_ptrIKiEEEESF_NSB_INSC_IiEEEEPS5_SI_SI_NS9_4lessIiEEEE10hipError_tPvRmT0_T1_T2_T3_T4_T5_mmT6_P12ihipStream_tbEUlT_E0_NS1_11comp_targetILNS1_3genE2ELNS1_11target_archE906ELNS1_3gpuE6ELNS1_3repE0EEENS1_30default_config_static_selectorELNS0_4arch9wavefront6targetE0EEEvSP_
    .private_segment_fixed_size: 0
    .sgpr_count:     0
    .sgpr_spill_count: 0
    .symbol:         _ZN7rocprim17ROCPRIM_400000_NS6detail17trampoline_kernelINS0_14default_configENS1_21merge_config_selectorIiNS0_10empty_typeEEEZNS1_10merge_implIS3_N6thrust23THRUST_200600_302600_NS6detail15normal_iteratorINS9_10device_ptrIKiEEEESF_NSB_INSC_IiEEEEPS5_SI_SI_NS9_4lessIiEEEE10hipError_tPvRmT0_T1_T2_T3_T4_T5_mmT6_P12ihipStream_tbEUlT_E0_NS1_11comp_targetILNS1_3genE2ELNS1_11target_archE906ELNS1_3gpuE6ELNS1_3repE0EEENS1_30default_config_static_selectorELNS0_4arch9wavefront6targetE0EEEvSP_.kd
    .uniform_work_group_size: 1
    .uses_dynamic_stack: false
    .vgpr_count:     0
    .vgpr_spill_count: 0
    .wavefront_size: 32
    .workgroup_processor_mode: 1
  - .args:
      - .offset:         0
        .size:           88
        .value_kind:     by_value
    .group_segment_fixed_size: 0
    .kernarg_segment_align: 8
    .kernarg_segment_size: 88
    .language:       OpenCL C
    .language_version:
      - 2
      - 0
    .max_flat_workgroup_size: 1024
    .name:           _ZN7rocprim17ROCPRIM_400000_NS6detail17trampoline_kernelINS0_14default_configENS1_21merge_config_selectorIiNS0_10empty_typeEEEZNS1_10merge_implIS3_N6thrust23THRUST_200600_302600_NS6detail15normal_iteratorINS9_10device_ptrIKiEEEESF_NSB_INSC_IiEEEEPS5_SI_SI_NS9_4lessIiEEEE10hipError_tPvRmT0_T1_T2_T3_T4_T5_mmT6_P12ihipStream_tbEUlT_E0_NS1_11comp_targetILNS1_3genE10ELNS1_11target_archE1201ELNS1_3gpuE5ELNS1_3repE0EEENS1_30default_config_static_selectorELNS0_4arch9wavefront6targetE0EEEvSP_
    .private_segment_fixed_size: 0
    .sgpr_count:     0
    .sgpr_spill_count: 0
    .symbol:         _ZN7rocprim17ROCPRIM_400000_NS6detail17trampoline_kernelINS0_14default_configENS1_21merge_config_selectorIiNS0_10empty_typeEEEZNS1_10merge_implIS3_N6thrust23THRUST_200600_302600_NS6detail15normal_iteratorINS9_10device_ptrIKiEEEESF_NSB_INSC_IiEEEEPS5_SI_SI_NS9_4lessIiEEEE10hipError_tPvRmT0_T1_T2_T3_T4_T5_mmT6_P12ihipStream_tbEUlT_E0_NS1_11comp_targetILNS1_3genE10ELNS1_11target_archE1201ELNS1_3gpuE5ELNS1_3repE0EEENS1_30default_config_static_selectorELNS0_4arch9wavefront6targetE0EEEvSP_.kd
    .uniform_work_group_size: 1
    .uses_dynamic_stack: false
    .vgpr_count:     0
    .vgpr_spill_count: 0
    .wavefront_size: 32
    .workgroup_processor_mode: 1
  - .args:
      - .offset:         0
        .size:           88
        .value_kind:     by_value
    .group_segment_fixed_size: 0
    .kernarg_segment_align: 8
    .kernarg_segment_size: 88
    .language:       OpenCL C
    .language_version:
      - 2
      - 0
    .max_flat_workgroup_size: 1024
    .name:           _ZN7rocprim17ROCPRIM_400000_NS6detail17trampoline_kernelINS0_14default_configENS1_21merge_config_selectorIiNS0_10empty_typeEEEZNS1_10merge_implIS3_N6thrust23THRUST_200600_302600_NS6detail15normal_iteratorINS9_10device_ptrIKiEEEESF_NSB_INSC_IiEEEEPS5_SI_SI_NS9_4lessIiEEEE10hipError_tPvRmT0_T1_T2_T3_T4_T5_mmT6_P12ihipStream_tbEUlT_E0_NS1_11comp_targetILNS1_3genE10ELNS1_11target_archE1200ELNS1_3gpuE4ELNS1_3repE0EEENS1_30default_config_static_selectorELNS0_4arch9wavefront6targetE0EEEvSP_
    .private_segment_fixed_size: 0
    .sgpr_count:     0
    .sgpr_spill_count: 0
    .symbol:         _ZN7rocprim17ROCPRIM_400000_NS6detail17trampoline_kernelINS0_14default_configENS1_21merge_config_selectorIiNS0_10empty_typeEEEZNS1_10merge_implIS3_N6thrust23THRUST_200600_302600_NS6detail15normal_iteratorINS9_10device_ptrIKiEEEESF_NSB_INSC_IiEEEEPS5_SI_SI_NS9_4lessIiEEEE10hipError_tPvRmT0_T1_T2_T3_T4_T5_mmT6_P12ihipStream_tbEUlT_E0_NS1_11comp_targetILNS1_3genE10ELNS1_11target_archE1200ELNS1_3gpuE4ELNS1_3repE0EEENS1_30default_config_static_selectorELNS0_4arch9wavefront6targetE0EEEvSP_.kd
    .uniform_work_group_size: 1
    .uses_dynamic_stack: false
    .vgpr_count:     0
    .vgpr_spill_count: 0
    .wavefront_size: 32
    .workgroup_processor_mode: 1
  - .args:
      - .offset:         0
        .size:           88
        .value_kind:     by_value
    .group_segment_fixed_size: 0
    .kernarg_segment_align: 8
    .kernarg_segment_size: 88
    .language:       OpenCL C
    .language_version:
      - 2
      - 0
    .max_flat_workgroup_size: 1024
    .name:           _ZN7rocprim17ROCPRIM_400000_NS6detail17trampoline_kernelINS0_14default_configENS1_21merge_config_selectorIiNS0_10empty_typeEEEZNS1_10merge_implIS3_N6thrust23THRUST_200600_302600_NS6detail15normal_iteratorINS9_10device_ptrIKiEEEESF_NSB_INSC_IiEEEEPS5_SI_SI_NS9_4lessIiEEEE10hipError_tPvRmT0_T1_T2_T3_T4_T5_mmT6_P12ihipStream_tbEUlT_E0_NS1_11comp_targetILNS1_3genE9ELNS1_11target_archE1100ELNS1_3gpuE3ELNS1_3repE0EEENS1_30default_config_static_selectorELNS0_4arch9wavefront6targetE0EEEvSP_
    .private_segment_fixed_size: 0
    .sgpr_count:     0
    .sgpr_spill_count: 0
    .symbol:         _ZN7rocprim17ROCPRIM_400000_NS6detail17trampoline_kernelINS0_14default_configENS1_21merge_config_selectorIiNS0_10empty_typeEEEZNS1_10merge_implIS3_N6thrust23THRUST_200600_302600_NS6detail15normal_iteratorINS9_10device_ptrIKiEEEESF_NSB_INSC_IiEEEEPS5_SI_SI_NS9_4lessIiEEEE10hipError_tPvRmT0_T1_T2_T3_T4_T5_mmT6_P12ihipStream_tbEUlT_E0_NS1_11comp_targetILNS1_3genE9ELNS1_11target_archE1100ELNS1_3gpuE3ELNS1_3repE0EEENS1_30default_config_static_selectorELNS0_4arch9wavefront6targetE0EEEvSP_.kd
    .uniform_work_group_size: 1
    .uses_dynamic_stack: false
    .vgpr_count:     0
    .vgpr_spill_count: 0
    .wavefront_size: 32
    .workgroup_processor_mode: 1
  - .args:
      - .offset:         0
        .size:           88
        .value_kind:     by_value
    .group_segment_fixed_size: 33792
    .kernarg_segment_align: 8
    .kernarg_segment_size: 88
    .language:       OpenCL C
    .language_version:
      - 2
      - 0
    .max_flat_workgroup_size: 1024
    .name:           _ZN7rocprim17ROCPRIM_400000_NS6detail17trampoline_kernelINS0_14default_configENS1_21merge_config_selectorIiNS0_10empty_typeEEEZNS1_10merge_implIS3_N6thrust23THRUST_200600_302600_NS6detail15normal_iteratorINS9_10device_ptrIKiEEEESF_NSB_INSC_IiEEEEPS5_SI_SI_NS9_4lessIiEEEE10hipError_tPvRmT0_T1_T2_T3_T4_T5_mmT6_P12ihipStream_tbEUlT_E0_NS1_11comp_targetILNS1_3genE8ELNS1_11target_archE1030ELNS1_3gpuE2ELNS1_3repE0EEENS1_30default_config_static_selectorELNS0_4arch9wavefront6targetE0EEEvSP_
    .private_segment_fixed_size: 0
    .sgpr_count:     20
    .sgpr_spill_count: 0
    .symbol:         _ZN7rocprim17ROCPRIM_400000_NS6detail17trampoline_kernelINS0_14default_configENS1_21merge_config_selectorIiNS0_10empty_typeEEEZNS1_10merge_implIS3_N6thrust23THRUST_200600_302600_NS6detail15normal_iteratorINS9_10device_ptrIKiEEEESF_NSB_INSC_IiEEEEPS5_SI_SI_NS9_4lessIiEEEE10hipError_tPvRmT0_T1_T2_T3_T4_T5_mmT6_P12ihipStream_tbEUlT_E0_NS1_11comp_targetILNS1_3genE8ELNS1_11target_archE1030ELNS1_3gpuE2ELNS1_3repE0EEENS1_30default_config_static_selectorELNS0_4arch9wavefront6targetE0EEEvSP_.kd
    .uniform_work_group_size: 1
    .uses_dynamic_stack: false
    .vgpr_count:     33
    .vgpr_spill_count: 0
    .wavefront_size: 32
    .workgroup_processor_mode: 1
  - .args:
      - .address_space:  global
        .offset:         0
        .size:           8
        .value_kind:     global_buffer
      - .offset:         8
        .size:           4
        .value_kind:     by_value
      - .address_space:  global
        .offset:         16
        .size:           8
        .value_kind:     global_buffer
      - .offset:         24
        .size:           4
        .value_kind:     by_value
      - .address_space:  global
        .offset:         32
        .size:           8
        .value_kind:     global_buffer
      - .offset:         40
        .size:           4
        .value_kind:     hidden_block_count_x
      - .offset:         44
        .size:           4
        .value_kind:     hidden_block_count_y
      - .offset:         48
        .size:           4
        .value_kind:     hidden_block_count_z
      - .offset:         52
        .size:           2
        .value_kind:     hidden_group_size_x
      - .offset:         54
        .size:           2
        .value_kind:     hidden_group_size_y
      - .offset:         56
        .size:           2
        .value_kind:     hidden_group_size_z
      - .offset:         58
        .size:           2
        .value_kind:     hidden_remainder_x
      - .offset:         60
        .size:           2
        .value_kind:     hidden_remainder_y
      - .offset:         62
        .size:           2
        .value_kind:     hidden_remainder_z
      - .offset:         80
        .size:           8
        .value_kind:     hidden_global_offset_x
      - .offset:         88
        .size:           8
        .value_kind:     hidden_global_offset_y
      - .offset:         96
        .size:           8
        .value_kind:     hidden_global_offset_z
      - .offset:         104
        .size:           2
        .value_kind:     hidden_grid_dims
    .group_segment_fixed_size: 0
    .kernarg_segment_align: 8
    .kernarg_segment_size: 296
    .language:       OpenCL C
    .language_version:
      - 2
      - 0
    .max_flat_workgroup_size: 256
    .name:           _ZN7rocprim17ROCPRIM_400000_NS6detail31init_lookback_scan_state_kernelINS1_19lookback_scan_stateIlLb0ELb1EEENS1_16ordered_block_idIjEEEEvT_jT0_jPNS7_10value_typeE
    .private_segment_fixed_size: 0
    .sgpr_count:     13
    .sgpr_spill_count: 0
    .symbol:         _ZN7rocprim17ROCPRIM_400000_NS6detail31init_lookback_scan_state_kernelINS1_19lookback_scan_stateIlLb0ELb1EEENS1_16ordered_block_idIjEEEEvT_jT0_jPNS7_10value_typeE.kd
    .uniform_work_group_size: 1
    .uses_dynamic_stack: false
    .vgpr_count:     8
    .vgpr_spill_count: 0
    .wavefront_size: 32
    .workgroup_processor_mode: 1
  - .args:
      - .offset:         0
        .size:           48
        .value_kind:     by_value
      - .offset:         48
        .size:           4
        .value_kind:     by_value
      - .offset:         52
        .size:           4
        .value_kind:     by_value
    .group_segment_fixed_size: 0
    .kernarg_segment_align: 8
    .kernarg_segment_size: 56
    .language:       OpenCL C
    .language_version:
      - 2
      - 0
    .max_flat_workgroup_size: 256
    .name:           _ZN6thrust23THRUST_200600_302600_NS11hip_rocprim14__parallel_for6kernelILj256EZNS1_16__set_operations9doit_stepILb0ENS0_6detail15normal_iteratorINS0_10device_ptrIKiEEEESB_PiSC_lNS7_INS8_IiEEEESC_NS0_4lessIiEENS4_16serial_set_unionEEE10hipError_tPvRmT0_T1_T2_T3_T4_SP_T5_T6_PSP_T7_T8_P12ihipStream_tbEUllE_jLj1EEEvSL_SM_SM_
    .private_segment_fixed_size: 0
    .sgpr_count:     18
    .sgpr_spill_count: 0
    .symbol:         _ZN6thrust23THRUST_200600_302600_NS11hip_rocprim14__parallel_for6kernelILj256EZNS1_16__set_operations9doit_stepILb0ENS0_6detail15normal_iteratorINS0_10device_ptrIKiEEEESB_PiSC_lNS7_INS8_IiEEEESC_NS0_4lessIiEENS4_16serial_set_unionEEE10hipError_tPvRmT0_T1_T2_T3_T4_SP_T5_T6_PSP_T7_T8_P12ihipStream_tbEUllE_jLj1EEEvSL_SM_SM_.kd
    .uniform_work_group_size: 1
    .uses_dynamic_stack: false
    .vgpr_count:     25
    .vgpr_spill_count: 0
    .wavefront_size: 32
    .workgroup_processor_mode: 1
  - .args:
      - .address_space:  global
        .offset:         0
        .size:           8
        .value_kind:     global_buffer
      - .address_space:  global
        .offset:         8
        .size:           8
        .value_kind:     global_buffer
      - .address_space:  global
        .offset:         16
        .size:           8
        .value_kind:     global_buffer
      - .address_space:  global
        .offset:         24
        .size:           8
        .value_kind:     global_buffer
      - .address_space:  global
        .offset:         32
        .size:           8
        .value_kind:     global_buffer
      - .address_space:  global
        .offset:         40
        .size:           8
        .value_kind:     global_buffer
      - .offset:         48
        .size:           1
        .value_kind:     by_value
      - .offset:         49
        .size:           1
        .value_kind:     by_value
      - .address_space:  global
        .offset:         56
        .size:           8
        .value_kind:     global_buffer
      - .address_space:  global
        .offset:         64
        .size:           8
        .value_kind:     global_buffer
      - .address_space:  global
        .offset:         72
        .size:           8
        .value_kind:     global_buffer
      - .address_space:  global
        .offset:         80
        .size:           8
        .value_kind:     global_buffer
      - .offset:         88
        .size:           4
        .value_kind:     hidden_block_count_x
      - .offset:         92
        .size:           4
        .value_kind:     hidden_block_count_y
      - .offset:         96
        .size:           4
        .value_kind:     hidden_block_count_z
      - .offset:         100
        .size:           2
        .value_kind:     hidden_group_size_x
      - .offset:         102
        .size:           2
        .value_kind:     hidden_group_size_y
      - .offset:         104
        .size:           2
        .value_kind:     hidden_group_size_z
      - .offset:         106
        .size:           2
        .value_kind:     hidden_remainder_x
      - .offset:         108
        .size:           2
        .value_kind:     hidden_remainder_y
      - .offset:         110
        .size:           2
        .value_kind:     hidden_remainder_z
      - .offset:         128
        .size:           8
        .value_kind:     hidden_global_offset_x
      - .offset:         136
        .size:           8
        .value_kind:     hidden_global_offset_y
      - .offset:         144
        .size:           8
        .value_kind:     hidden_global_offset_z
      - .offset:         152
        .size:           2
        .value_kind:     hidden_grid_dims
    .group_segment_fixed_size: 36868
    .kernarg_segment_align: 8
    .kernarg_segment_size: 344
    .language:       OpenCL C
    .language_version:
      - 2
      - 0
    .max_flat_workgroup_size: 256
    .name:           _ZN6thrust23THRUST_200600_302600_NS11hip_rocprim16__set_operations22lookback_set_op_kernelIN7rocprim17ROCPRIM_400000_NS13kernel_configILj256ELj16ELj4294967295EEELb0ENS0_6detail15normal_iteratorINS0_10device_ptrIKiEEEESD_PiSE_lNS9_INSA_IiEEEESE_NS0_4lessIiEENS2_16serial_set_unionENS5_6detail19lookback_scan_stateIlLb0ELb1EEEEEvT1_T2_T3_T4_T6_T7_T8_T9_PNS0_4pairIT5_SW_EEPSW_T10_NSK_16ordered_block_idIjEE
    .private_segment_fixed_size: 0
    .sgpr_count:     38
    .sgpr_spill_count: 0
    .symbol:         _ZN6thrust23THRUST_200600_302600_NS11hip_rocprim16__set_operations22lookback_set_op_kernelIN7rocprim17ROCPRIM_400000_NS13kernel_configILj256ELj16ELj4294967295EEELb0ENS0_6detail15normal_iteratorINS0_10device_ptrIKiEEEESD_PiSE_lNS9_INSA_IiEEEESE_NS0_4lessIiEENS2_16serial_set_unionENS5_6detail19lookback_scan_stateIlLb0ELb1EEEEEvT1_T2_T3_T4_T6_T7_T8_T9_PNS0_4pairIT5_SW_EEPSW_T10_NSK_16ordered_block_idIjEE.kd
    .uniform_work_group_size: 1
    .uses_dynamic_stack: false
    .vgpr_count:     79
    .vgpr_spill_count: 0
    .wavefront_size: 32
    .workgroup_processor_mode: 1
  - .args:
      - .offset:         0
        .size:           48
        .value_kind:     by_value
      - .offset:         48
        .size:           4
        .value_kind:     by_value
      - .offset:         52
        .size:           4
        .value_kind:     by_value
    .group_segment_fixed_size: 0
    .kernarg_segment_align: 8
    .kernarg_segment_size: 56
    .language:       OpenCL C
    .language_version:
      - 2
      - 0
    .max_flat_workgroup_size: 256
    .name:           _ZN6thrust23THRUST_200600_302600_NS11hip_rocprim14__parallel_for6kernelILj256EZNS1_16__set_operations9doit_stepILb0ENS0_6detail15normal_iteratorINS0_10device_ptrIKiEEEESB_PiSC_lNS7_INS8_IiEEEESC_NS0_4lessIiEENS4_23serial_set_intersectionEEE10hipError_tPvRmT0_T1_T2_T3_T4_SP_T5_T6_PSP_T7_T8_P12ihipStream_tbEUllE_jLj1EEEvSL_SM_SM_
    .private_segment_fixed_size: 0
    .sgpr_count:     18
    .sgpr_spill_count: 0
    .symbol:         _ZN6thrust23THRUST_200600_302600_NS11hip_rocprim14__parallel_for6kernelILj256EZNS1_16__set_operations9doit_stepILb0ENS0_6detail15normal_iteratorINS0_10device_ptrIKiEEEESB_PiSC_lNS7_INS8_IiEEEESC_NS0_4lessIiEENS4_23serial_set_intersectionEEE10hipError_tPvRmT0_T1_T2_T3_T4_SP_T5_T6_PSP_T7_T8_P12ihipStream_tbEUllE_jLj1EEEvSL_SM_SM_.kd
    .uniform_work_group_size: 1
    .uses_dynamic_stack: false
    .vgpr_count:     25
    .vgpr_spill_count: 0
    .wavefront_size: 32
    .workgroup_processor_mode: 1
  - .args:
      - .address_space:  global
        .offset:         0
        .size:           8
        .value_kind:     global_buffer
      - .address_space:  global
        .offset:         8
        .size:           8
        .value_kind:     global_buffer
      - .address_space:  global
        .offset:         16
        .size:           8
        .value_kind:     global_buffer
      - .address_space:  global
        .offset:         24
        .size:           8
        .value_kind:     global_buffer
      - .address_space:  global
        .offset:         32
        .size:           8
        .value_kind:     global_buffer
      - .address_space:  global
        .offset:         40
        .size:           8
        .value_kind:     global_buffer
      - .offset:         48
        .size:           1
        .value_kind:     by_value
      - .offset:         49
        .size:           1
        .value_kind:     by_value
      - .address_space:  global
        .offset:         56
        .size:           8
        .value_kind:     global_buffer
      - .address_space:  global
        .offset:         64
        .size:           8
        .value_kind:     global_buffer
      - .address_space:  global
        .offset:         72
        .size:           8
        .value_kind:     global_buffer
      - .address_space:  global
        .offset:         80
        .size:           8
        .value_kind:     global_buffer
      - .offset:         88
        .size:           4
        .value_kind:     hidden_block_count_x
      - .offset:         92
        .size:           4
        .value_kind:     hidden_block_count_y
      - .offset:         96
        .size:           4
        .value_kind:     hidden_block_count_z
      - .offset:         100
        .size:           2
        .value_kind:     hidden_group_size_x
      - .offset:         102
        .size:           2
        .value_kind:     hidden_group_size_y
      - .offset:         104
        .size:           2
        .value_kind:     hidden_group_size_z
      - .offset:         106
        .size:           2
        .value_kind:     hidden_remainder_x
      - .offset:         108
        .size:           2
        .value_kind:     hidden_remainder_y
      - .offset:         110
        .size:           2
        .value_kind:     hidden_remainder_z
      - .offset:         128
        .size:           8
        .value_kind:     hidden_global_offset_x
      - .offset:         136
        .size:           8
        .value_kind:     hidden_global_offset_y
      - .offset:         144
        .size:           8
        .value_kind:     hidden_global_offset_z
      - .offset:         152
        .size:           2
        .value_kind:     hidden_grid_dims
    .group_segment_fixed_size: 36868
    .kernarg_segment_align: 8
    .kernarg_segment_size: 344
    .language:       OpenCL C
    .language_version:
      - 2
      - 0
    .max_flat_workgroup_size: 256
    .name:           _ZN6thrust23THRUST_200600_302600_NS11hip_rocprim16__set_operations22lookback_set_op_kernelIN7rocprim17ROCPRIM_400000_NS13kernel_configILj256ELj16ELj4294967295EEELb0ENS0_6detail15normal_iteratorINS0_10device_ptrIKiEEEESD_PiSE_lNS9_INSA_IiEEEESE_NS0_4lessIiEENS2_23serial_set_intersectionENS5_6detail19lookback_scan_stateIlLb0ELb1EEEEEvT1_T2_T3_T4_T6_T7_T8_T9_PNS0_4pairIT5_SW_EEPSW_T10_NSK_16ordered_block_idIjEE
    .private_segment_fixed_size: 0
    .sgpr_count:     46
    .sgpr_spill_count: 0
    .symbol:         _ZN6thrust23THRUST_200600_302600_NS11hip_rocprim16__set_operations22lookback_set_op_kernelIN7rocprim17ROCPRIM_400000_NS13kernel_configILj256ELj16ELj4294967295EEELb0ENS0_6detail15normal_iteratorINS0_10device_ptrIKiEEEESD_PiSE_lNS9_INSA_IiEEEESE_NS0_4lessIiEENS2_23serial_set_intersectionENS5_6detail19lookback_scan_stateIlLb0ELb1EEEEEvT1_T2_T3_T4_T6_T7_T8_T9_PNS0_4pairIT5_SW_EEPSW_T10_NSK_16ordered_block_idIjEE.kd
    .uniform_work_group_size: 1
    .uses_dynamic_stack: false
    .vgpr_count:     74
    .vgpr_spill_count: 0
    .wavefront_size: 32
    .workgroup_processor_mode: 1
  - .args:
      - .offset:         0
        .size:           48
        .value_kind:     by_value
      - .offset:         48
        .size:           4
        .value_kind:     by_value
      - .offset:         52
        .size:           4
        .value_kind:     by_value
    .group_segment_fixed_size: 0
    .kernarg_segment_align: 8
    .kernarg_segment_size: 56
    .language:       OpenCL C
    .language_version:
      - 2
      - 0
    .max_flat_workgroup_size: 256
    .name:           _ZN6thrust23THRUST_200600_302600_NS11hip_rocprim14__parallel_for6kernelILj256EZNS1_16__set_operations9doit_stepILb0ENS0_6detail15normal_iteratorINS0_10device_ptrIKiEEEESB_PiSC_lNS7_INS8_IiEEEESC_NS0_4lessIiEENS4_21serial_set_differenceEEE10hipError_tPvRmT0_T1_T2_T3_T4_SP_T5_T6_PSP_T7_T8_P12ihipStream_tbEUllE_jLj1EEEvSL_SM_SM_
    .private_segment_fixed_size: 0
    .sgpr_count:     18
    .sgpr_spill_count: 0
    .symbol:         _ZN6thrust23THRUST_200600_302600_NS11hip_rocprim14__parallel_for6kernelILj256EZNS1_16__set_operations9doit_stepILb0ENS0_6detail15normal_iteratorINS0_10device_ptrIKiEEEESB_PiSC_lNS7_INS8_IiEEEESC_NS0_4lessIiEENS4_21serial_set_differenceEEE10hipError_tPvRmT0_T1_T2_T3_T4_SP_T5_T6_PSP_T7_T8_P12ihipStream_tbEUllE_jLj1EEEvSL_SM_SM_.kd
    .uniform_work_group_size: 1
    .uses_dynamic_stack: false
    .vgpr_count:     25
    .vgpr_spill_count: 0
    .wavefront_size: 32
    .workgroup_processor_mode: 1
  - .args:
      - .address_space:  global
        .offset:         0
        .size:           8
        .value_kind:     global_buffer
      - .address_space:  global
        .offset:         8
        .size:           8
        .value_kind:     global_buffer
      - .address_space:  global
        .offset:         16
        .size:           8
        .value_kind:     global_buffer
      - .address_space:  global
        .offset:         24
        .size:           8
        .value_kind:     global_buffer
      - .address_space:  global
        .offset:         32
        .size:           8
        .value_kind:     global_buffer
      - .address_space:  global
        .offset:         40
        .size:           8
        .value_kind:     global_buffer
      - .offset:         48
        .size:           1
        .value_kind:     by_value
      - .offset:         49
        .size:           1
        .value_kind:     by_value
      - .address_space:  global
        .offset:         56
        .size:           8
        .value_kind:     global_buffer
      - .address_space:  global
        .offset:         64
        .size:           8
        .value_kind:     global_buffer
      - .address_space:  global
        .offset:         72
        .size:           8
        .value_kind:     global_buffer
      - .address_space:  global
        .offset:         80
        .size:           8
        .value_kind:     global_buffer
      - .offset:         88
        .size:           4
        .value_kind:     hidden_block_count_x
      - .offset:         92
        .size:           4
        .value_kind:     hidden_block_count_y
      - .offset:         96
        .size:           4
        .value_kind:     hidden_block_count_z
      - .offset:         100
        .size:           2
        .value_kind:     hidden_group_size_x
      - .offset:         102
        .size:           2
        .value_kind:     hidden_group_size_y
      - .offset:         104
        .size:           2
        .value_kind:     hidden_group_size_z
      - .offset:         106
        .size:           2
        .value_kind:     hidden_remainder_x
      - .offset:         108
        .size:           2
        .value_kind:     hidden_remainder_y
      - .offset:         110
        .size:           2
        .value_kind:     hidden_remainder_z
      - .offset:         128
        .size:           8
        .value_kind:     hidden_global_offset_x
      - .offset:         136
        .size:           8
        .value_kind:     hidden_global_offset_y
      - .offset:         144
        .size:           8
        .value_kind:     hidden_global_offset_z
      - .offset:         152
        .size:           2
        .value_kind:     hidden_grid_dims
    .group_segment_fixed_size: 36868
    .kernarg_segment_align: 8
    .kernarg_segment_size: 344
    .language:       OpenCL C
    .language_version:
      - 2
      - 0
    .max_flat_workgroup_size: 256
    .name:           _ZN6thrust23THRUST_200600_302600_NS11hip_rocprim16__set_operations22lookback_set_op_kernelIN7rocprim17ROCPRIM_400000_NS13kernel_configILj256ELj16ELj4294967295EEELb0ENS0_6detail15normal_iteratorINS0_10device_ptrIKiEEEESD_PiSE_lNS9_INSA_IiEEEESE_NS0_4lessIiEENS2_21serial_set_differenceENS5_6detail19lookback_scan_stateIlLb0ELb1EEEEEvT1_T2_T3_T4_T6_T7_T8_T9_PNS0_4pairIT5_SW_EEPSW_T10_NSK_16ordered_block_idIjEE
    .private_segment_fixed_size: 0
    .sgpr_count:     41
    .sgpr_spill_count: 0
    .symbol:         _ZN6thrust23THRUST_200600_302600_NS11hip_rocprim16__set_operations22lookback_set_op_kernelIN7rocprim17ROCPRIM_400000_NS13kernel_configILj256ELj16ELj4294967295EEELb0ENS0_6detail15normal_iteratorINS0_10device_ptrIKiEEEESD_PiSE_lNS9_INSA_IiEEEESE_NS0_4lessIiEENS2_21serial_set_differenceENS5_6detail19lookback_scan_stateIlLb0ELb1EEEEEvT1_T2_T3_T4_T6_T7_T8_T9_PNS0_4pairIT5_SW_EEPSW_T10_NSK_16ordered_block_idIjEE.kd
    .uniform_work_group_size: 1
    .uses_dynamic_stack: false
    .vgpr_count:     59
    .vgpr_spill_count: 0
    .wavefront_size: 32
    .workgroup_processor_mode: 1
  - .args:
      - .offset:         0
        .size:           48
        .value_kind:     by_value
      - .offset:         48
        .size:           4
        .value_kind:     by_value
      - .offset:         52
        .size:           4
        .value_kind:     by_value
    .group_segment_fixed_size: 0
    .kernarg_segment_align: 8
    .kernarg_segment_size: 56
    .language:       OpenCL C
    .language_version:
      - 2
      - 0
    .max_flat_workgroup_size: 256
    .name:           _ZN6thrust23THRUST_200600_302600_NS11hip_rocprim14__parallel_for6kernelILj256EZNS1_16__set_operations9doit_stepILb0ENS0_6detail15normal_iteratorINS0_10device_ptrIKiEEEESB_PiSC_lNS7_INS8_IiEEEESC_NS0_4lessIiEENS4_31serial_set_symmetric_differenceEEE10hipError_tPvRmT0_T1_T2_T3_T4_SP_T5_T6_PSP_T7_T8_P12ihipStream_tbEUllE_jLj1EEEvSL_SM_SM_
    .private_segment_fixed_size: 0
    .sgpr_count:     18
    .sgpr_spill_count: 0
    .symbol:         _ZN6thrust23THRUST_200600_302600_NS11hip_rocprim14__parallel_for6kernelILj256EZNS1_16__set_operations9doit_stepILb0ENS0_6detail15normal_iteratorINS0_10device_ptrIKiEEEESB_PiSC_lNS7_INS8_IiEEEESC_NS0_4lessIiEENS4_31serial_set_symmetric_differenceEEE10hipError_tPvRmT0_T1_T2_T3_T4_SP_T5_T6_PSP_T7_T8_P12ihipStream_tbEUllE_jLj1EEEvSL_SM_SM_.kd
    .uniform_work_group_size: 1
    .uses_dynamic_stack: false
    .vgpr_count:     25
    .vgpr_spill_count: 0
    .wavefront_size: 32
    .workgroup_processor_mode: 1
  - .args:
      - .address_space:  global
        .offset:         0
        .size:           8
        .value_kind:     global_buffer
      - .address_space:  global
        .offset:         8
        .size:           8
        .value_kind:     global_buffer
      - .address_space:  global
        .offset:         16
        .size:           8
        .value_kind:     global_buffer
      - .address_space:  global
        .offset:         24
        .size:           8
        .value_kind:     global_buffer
      - .address_space:  global
        .offset:         32
        .size:           8
        .value_kind:     global_buffer
      - .address_space:  global
        .offset:         40
        .size:           8
        .value_kind:     global_buffer
      - .offset:         48
        .size:           1
        .value_kind:     by_value
      - .offset:         49
        .size:           1
        .value_kind:     by_value
      - .address_space:  global
        .offset:         56
        .size:           8
        .value_kind:     global_buffer
      - .address_space:  global
        .offset:         64
        .size:           8
        .value_kind:     global_buffer
      - .address_space:  global
        .offset:         72
        .size:           8
        .value_kind:     global_buffer
      - .address_space:  global
        .offset:         80
        .size:           8
        .value_kind:     global_buffer
      - .offset:         88
        .size:           4
        .value_kind:     hidden_block_count_x
      - .offset:         92
        .size:           4
        .value_kind:     hidden_block_count_y
      - .offset:         96
        .size:           4
        .value_kind:     hidden_block_count_z
      - .offset:         100
        .size:           2
        .value_kind:     hidden_group_size_x
      - .offset:         102
        .size:           2
        .value_kind:     hidden_group_size_y
      - .offset:         104
        .size:           2
        .value_kind:     hidden_group_size_z
      - .offset:         106
        .size:           2
        .value_kind:     hidden_remainder_x
      - .offset:         108
        .size:           2
        .value_kind:     hidden_remainder_y
      - .offset:         110
        .size:           2
        .value_kind:     hidden_remainder_z
      - .offset:         128
        .size:           8
        .value_kind:     hidden_global_offset_x
      - .offset:         136
        .size:           8
        .value_kind:     hidden_global_offset_y
      - .offset:         144
        .size:           8
        .value_kind:     hidden_global_offset_z
      - .offset:         152
        .size:           2
        .value_kind:     hidden_grid_dims
    .group_segment_fixed_size: 36868
    .kernarg_segment_align: 8
    .kernarg_segment_size: 344
    .language:       OpenCL C
    .language_version:
      - 2
      - 0
    .max_flat_workgroup_size: 256
    .name:           _ZN6thrust23THRUST_200600_302600_NS11hip_rocprim16__set_operations22lookback_set_op_kernelIN7rocprim17ROCPRIM_400000_NS13kernel_configILj256ELj16ELj4294967295EEELb0ENS0_6detail15normal_iteratorINS0_10device_ptrIKiEEEESD_PiSE_lNS9_INSA_IiEEEESE_NS0_4lessIiEENS2_31serial_set_symmetric_differenceENS5_6detail19lookback_scan_stateIlLb0ELb1EEEEEvT1_T2_T3_T4_T6_T7_T8_T9_PNS0_4pairIT5_SW_EEPSW_T10_NSK_16ordered_block_idIjEE
    .private_segment_fixed_size: 0
    .sgpr_count:     60
    .sgpr_spill_count: 0
    .symbol:         _ZN6thrust23THRUST_200600_302600_NS11hip_rocprim16__set_operations22lookback_set_op_kernelIN7rocprim17ROCPRIM_400000_NS13kernel_configILj256ELj16ELj4294967295EEELb0ENS0_6detail15normal_iteratorINS0_10device_ptrIKiEEEESD_PiSE_lNS9_INSA_IiEEEESE_NS0_4lessIiEENS2_31serial_set_symmetric_differenceENS5_6detail19lookback_scan_stateIlLb0ELb1EEEEEvT1_T2_T3_T4_T6_T7_T8_T9_PNS0_4pairIT5_SW_EEPSW_T10_NSK_16ordered_block_idIjEE.kd
    .uniform_work_group_size: 1
    .uses_dynamic_stack: false
    .vgpr_count:     75
    .vgpr_spill_count: 0
    .wavefront_size: 32
    .workgroup_processor_mode: 1
  - .args:
      - .offset:         0
        .size:           48
        .value_kind:     by_value
      - .offset:         48
        .size:           4
        .value_kind:     by_value
      - .offset:         52
        .size:           4
        .value_kind:     by_value
    .group_segment_fixed_size: 0
    .kernarg_segment_align: 8
    .kernarg_segment_size: 56
    .language:       OpenCL C
    .language_version:
      - 2
      - 0
    .max_flat_workgroup_size: 256
    .name:           _ZN6thrust23THRUST_200600_302600_NS11hip_rocprim14__parallel_for6kernelILj256EZNS1_16__set_operations9doit_stepILb0ENS0_6detail15normal_iteratorINS0_10device_ptrIKiEEEESB_PiSC_lNS0_16discard_iteratorINS0_11use_defaultEEESC_NS0_4lessIiEENS4_23serial_set_intersectionEEE10hipError_tPvRmT0_T1_T2_T3_T4_SQ_T5_T6_PSQ_T7_T8_P12ihipStream_tbEUllE_jLj1EEEvSM_SN_SN_
    .private_segment_fixed_size: 0
    .sgpr_count:     18
    .sgpr_spill_count: 0
    .symbol:         _ZN6thrust23THRUST_200600_302600_NS11hip_rocprim14__parallel_for6kernelILj256EZNS1_16__set_operations9doit_stepILb0ENS0_6detail15normal_iteratorINS0_10device_ptrIKiEEEESB_PiSC_lNS0_16discard_iteratorINS0_11use_defaultEEESC_NS0_4lessIiEENS4_23serial_set_intersectionEEE10hipError_tPvRmT0_T1_T2_T3_T4_SQ_T5_T6_PSQ_T7_T8_P12ihipStream_tbEUllE_jLj1EEEvSM_SN_SN_.kd
    .uniform_work_group_size: 1
    .uses_dynamic_stack: false
    .vgpr_count:     25
    .vgpr_spill_count: 0
    .wavefront_size: 32
    .workgroup_processor_mode: 1
  - .args:
      - .address_space:  global
        .offset:         0
        .size:           8
        .value_kind:     global_buffer
      - .address_space:  global
        .offset:         8
        .size:           8
        .value_kind:     global_buffer
      - .address_space:  global
        .offset:         16
        .size:           8
        .value_kind:     global_buffer
      - .address_space:  global
        .offset:         24
        .size:           8
        .value_kind:     global_buffer
      - .offset:         32
        .size:           16
        .value_kind:     by_value
      - .address_space:  global
        .offset:         48
        .size:           8
        .value_kind:     global_buffer
      - .offset:         56
        .size:           1
        .value_kind:     by_value
      - .offset:         57
        .size:           1
        .value_kind:     by_value
      - .address_space:  global
        .offset:         64
        .size:           8
        .value_kind:     global_buffer
      - .address_space:  global
        .offset:         72
        .size:           8
        .value_kind:     global_buffer
      - .address_space:  global
        .offset:         80
        .size:           8
        .value_kind:     global_buffer
      - .address_space:  global
        .offset:         88
        .size:           8
        .value_kind:     global_buffer
      - .offset:         96
        .size:           4
        .value_kind:     hidden_block_count_x
      - .offset:         100
        .size:           4
        .value_kind:     hidden_block_count_y
      - .offset:         104
        .size:           4
        .value_kind:     hidden_block_count_z
      - .offset:         108
        .size:           2
        .value_kind:     hidden_group_size_x
      - .offset:         110
        .size:           2
        .value_kind:     hidden_group_size_y
      - .offset:         112
        .size:           2
        .value_kind:     hidden_group_size_z
      - .offset:         114
        .size:           2
        .value_kind:     hidden_remainder_x
      - .offset:         116
        .size:           2
        .value_kind:     hidden_remainder_y
      - .offset:         118
        .size:           2
        .value_kind:     hidden_remainder_z
      - .offset:         136
        .size:           8
        .value_kind:     hidden_global_offset_x
      - .offset:         144
        .size:           8
        .value_kind:     hidden_global_offset_y
      - .offset:         152
        .size:           8
        .value_kind:     hidden_global_offset_z
      - .offset:         160
        .size:           2
        .value_kind:     hidden_grid_dims
    .group_segment_fixed_size: 36868
    .kernarg_segment_align: 8
    .kernarg_segment_size: 352
    .language:       OpenCL C
    .language_version:
      - 2
      - 0
    .max_flat_workgroup_size: 256
    .name:           _ZN6thrust23THRUST_200600_302600_NS11hip_rocprim16__set_operations22lookback_set_op_kernelIN7rocprim17ROCPRIM_400000_NS13kernel_configILj256ELj16ELj4294967295EEELb0ENS0_6detail15normal_iteratorINS0_10device_ptrIKiEEEESD_PiSE_lNS0_16discard_iteratorINS0_11use_defaultEEESE_NS0_4lessIiEENS2_23serial_set_intersectionENS5_6detail19lookback_scan_stateIlLb0ELb1EEEEEvT1_T2_T3_T4_T6_T7_T8_T9_PNS0_4pairIT5_SX_EEPSX_T10_NSL_16ordered_block_idIjEE
    .private_segment_fixed_size: 0
    .sgpr_count:     44
    .sgpr_spill_count: 0
    .symbol:         _ZN6thrust23THRUST_200600_302600_NS11hip_rocprim16__set_operations22lookback_set_op_kernelIN7rocprim17ROCPRIM_400000_NS13kernel_configILj256ELj16ELj4294967295EEELb0ENS0_6detail15normal_iteratorINS0_10device_ptrIKiEEEESD_PiSE_lNS0_16discard_iteratorINS0_11use_defaultEEESE_NS0_4lessIiEENS2_23serial_set_intersectionENS5_6detail19lookback_scan_stateIlLb0ELb1EEEEEvT1_T2_T3_T4_T6_T7_T8_T9_PNS0_4pairIT5_SX_EEPSX_T10_NSL_16ordered_block_idIjEE.kd
    .uniform_work_group_size: 1
    .uses_dynamic_stack: false
    .vgpr_count:     74
    .vgpr_spill_count: 0
    .wavefront_size: 32
    .workgroup_processor_mode: 1
amdhsa.target:   amdgcn-amd-amdhsa--gfx1030
amdhsa.version:
  - 1
  - 2
...

	.end_amdgpu_metadata
